;; amdgpu-corpus repo=ROCm/rocFFT kind=compiled arch=gfx906 opt=O3
	.text
	.amdgcn_target "amdgcn-amd-amdhsa--gfx906"
	.amdhsa_code_object_version 6
	.protected	fft_rtc_back_len1904_factors_17_2_2_7_4_wgs_119_tpt_119_halfLds_sp_ip_CI_unitstride_sbrr_R2C_dirReg ; -- Begin function fft_rtc_back_len1904_factors_17_2_2_7_4_wgs_119_tpt_119_halfLds_sp_ip_CI_unitstride_sbrr_R2C_dirReg
	.globl	fft_rtc_back_len1904_factors_17_2_2_7_4_wgs_119_tpt_119_halfLds_sp_ip_CI_unitstride_sbrr_R2C_dirReg
	.p2align	8
	.type	fft_rtc_back_len1904_factors_17_2_2_7_4_wgs_119_tpt_119_halfLds_sp_ip_CI_unitstride_sbrr_R2C_dirReg,@function
fft_rtc_back_len1904_factors_17_2_2_7_4_wgs_119_tpt_119_halfLds_sp_ip_CI_unitstride_sbrr_R2C_dirReg: ; @fft_rtc_back_len1904_factors_17_2_2_7_4_wgs_119_tpt_119_halfLds_sp_ip_CI_unitstride_sbrr_R2C_dirReg
; %bb.0:
	s_load_dwordx2 s[12:13], s[4:5], 0x50
	s_load_dwordx4 s[8:11], s[4:5], 0x0
	s_load_dwordx2 s[2:3], s[4:5], 0x18
	v_mul_u32_u24_e32 v1, 0x227, v0
	v_add_u32_sdwa v5, s6, v1 dst_sel:DWORD dst_unused:UNUSED_PAD src0_sel:DWORD src1_sel:WORD_1
	v_mov_b32_e32 v3, 0
	s_waitcnt lgkmcnt(0)
	v_cmp_lt_u64_e64 s[0:1], s[10:11], 2
	v_mov_b32_e32 v1, 0
	v_mov_b32_e32 v6, v3
	s_and_b64 vcc, exec, s[0:1]
	v_mov_b32_e32 v2, 0
	s_cbranch_vccnz .LBB0_8
; %bb.1:
	s_load_dwordx2 s[0:1], s[4:5], 0x10
	s_add_u32 s6, s2, 8
	s_addc_u32 s7, s3, 0
	v_mov_b32_e32 v1, 0
	v_mov_b32_e32 v2, 0
	s_waitcnt lgkmcnt(0)
	s_add_u32 s14, s0, 8
	s_addc_u32 s15, s1, 0
	s_mov_b64 s[16:17], 1
.LBB0_2:                                ; =>This Inner Loop Header: Depth=1
	s_load_dwordx2 s[18:19], s[14:15], 0x0
                                        ; implicit-def: $vgpr7_vgpr8
	s_waitcnt lgkmcnt(0)
	v_or_b32_e32 v4, s19, v6
	v_cmp_ne_u64_e32 vcc, 0, v[3:4]
	s_and_saveexec_b64 s[0:1], vcc
	s_xor_b64 s[20:21], exec, s[0:1]
	s_cbranch_execz .LBB0_4
; %bb.3:                                ;   in Loop: Header=BB0_2 Depth=1
	v_cvt_f32_u32_e32 v4, s18
	v_cvt_f32_u32_e32 v7, s19
	s_sub_u32 s0, 0, s18
	s_subb_u32 s1, 0, s19
	v_mac_f32_e32 v4, 0x4f800000, v7
	v_rcp_f32_e32 v4, v4
	v_mul_f32_e32 v4, 0x5f7ffffc, v4
	v_mul_f32_e32 v7, 0x2f800000, v4
	v_trunc_f32_e32 v7, v7
	v_mac_f32_e32 v4, 0xcf800000, v7
	v_cvt_u32_f32_e32 v7, v7
	v_cvt_u32_f32_e32 v4, v4
	v_mul_lo_u32 v8, s0, v7
	v_mul_hi_u32 v9, s0, v4
	v_mul_lo_u32 v11, s1, v4
	v_mul_lo_u32 v10, s0, v4
	v_add_u32_e32 v8, v9, v8
	v_add_u32_e32 v8, v8, v11
	v_mul_hi_u32 v9, v4, v10
	v_mul_lo_u32 v11, v4, v8
	v_mul_hi_u32 v13, v4, v8
	v_mul_hi_u32 v12, v7, v10
	v_mul_lo_u32 v10, v7, v10
	v_mul_hi_u32 v14, v7, v8
	v_add_co_u32_e32 v9, vcc, v9, v11
	v_addc_co_u32_e32 v11, vcc, 0, v13, vcc
	v_mul_lo_u32 v8, v7, v8
	v_add_co_u32_e32 v9, vcc, v9, v10
	v_addc_co_u32_e32 v9, vcc, v11, v12, vcc
	v_addc_co_u32_e32 v10, vcc, 0, v14, vcc
	v_add_co_u32_e32 v8, vcc, v9, v8
	v_addc_co_u32_e32 v9, vcc, 0, v10, vcc
	v_add_co_u32_e32 v4, vcc, v4, v8
	v_addc_co_u32_e32 v7, vcc, v7, v9, vcc
	v_mul_lo_u32 v8, s0, v7
	v_mul_hi_u32 v9, s0, v4
	v_mul_lo_u32 v10, s1, v4
	v_mul_lo_u32 v11, s0, v4
	v_add_u32_e32 v8, v9, v8
	v_add_u32_e32 v8, v8, v10
	v_mul_lo_u32 v12, v4, v8
	v_mul_hi_u32 v13, v4, v11
	v_mul_hi_u32 v14, v4, v8
	;; [unrolled: 1-line block ×3, first 2 shown]
	v_mul_lo_u32 v11, v7, v11
	v_mul_hi_u32 v9, v7, v8
	v_add_co_u32_e32 v12, vcc, v13, v12
	v_addc_co_u32_e32 v13, vcc, 0, v14, vcc
	v_mul_lo_u32 v8, v7, v8
	v_add_co_u32_e32 v11, vcc, v12, v11
	v_addc_co_u32_e32 v10, vcc, v13, v10, vcc
	v_addc_co_u32_e32 v9, vcc, 0, v9, vcc
	v_add_co_u32_e32 v8, vcc, v10, v8
	v_addc_co_u32_e32 v9, vcc, 0, v9, vcc
	v_add_co_u32_e32 v4, vcc, v4, v8
	v_addc_co_u32_e32 v9, vcc, v7, v9, vcc
	v_mad_u64_u32 v[7:8], s[0:1], v5, v9, 0
	v_mul_hi_u32 v10, v5, v4
	v_add_co_u32_e32 v11, vcc, v10, v7
	v_addc_co_u32_e32 v12, vcc, 0, v8, vcc
	v_mad_u64_u32 v[7:8], s[0:1], v6, v4, 0
	v_mad_u64_u32 v[9:10], s[0:1], v6, v9, 0
	v_add_co_u32_e32 v4, vcc, v11, v7
	v_addc_co_u32_e32 v4, vcc, v12, v8, vcc
	v_addc_co_u32_e32 v7, vcc, 0, v10, vcc
	v_add_co_u32_e32 v4, vcc, v4, v9
	v_addc_co_u32_e32 v9, vcc, 0, v7, vcc
	v_mul_lo_u32 v10, s19, v4
	v_mul_lo_u32 v11, s18, v9
	v_mad_u64_u32 v[7:8], s[0:1], s18, v4, 0
	v_add3_u32 v8, v8, v11, v10
	v_sub_u32_e32 v10, v6, v8
	v_mov_b32_e32 v11, s19
	v_sub_co_u32_e32 v7, vcc, v5, v7
	v_subb_co_u32_e64 v10, s[0:1], v10, v11, vcc
	v_subrev_co_u32_e64 v11, s[0:1], s18, v7
	v_subbrev_co_u32_e64 v10, s[0:1], 0, v10, s[0:1]
	v_cmp_le_u32_e64 s[0:1], s19, v10
	v_cndmask_b32_e64 v12, 0, -1, s[0:1]
	v_cmp_le_u32_e64 s[0:1], s18, v11
	v_cndmask_b32_e64 v11, 0, -1, s[0:1]
	v_cmp_eq_u32_e64 s[0:1], s19, v10
	v_cndmask_b32_e64 v10, v12, v11, s[0:1]
	v_add_co_u32_e64 v11, s[0:1], 2, v4
	v_addc_co_u32_e64 v12, s[0:1], 0, v9, s[0:1]
	v_add_co_u32_e64 v13, s[0:1], 1, v4
	v_addc_co_u32_e64 v14, s[0:1], 0, v9, s[0:1]
	v_subb_co_u32_e32 v8, vcc, v6, v8, vcc
	v_cmp_ne_u32_e64 s[0:1], 0, v10
	v_cmp_le_u32_e32 vcc, s19, v8
	v_cndmask_b32_e64 v10, v14, v12, s[0:1]
	v_cndmask_b32_e64 v12, 0, -1, vcc
	v_cmp_le_u32_e32 vcc, s18, v7
	v_cndmask_b32_e64 v7, 0, -1, vcc
	v_cmp_eq_u32_e32 vcc, s19, v8
	v_cndmask_b32_e32 v7, v12, v7, vcc
	v_cmp_ne_u32_e32 vcc, 0, v7
	v_cndmask_b32_e64 v7, v13, v11, s[0:1]
	v_cndmask_b32_e32 v8, v9, v10, vcc
	v_cndmask_b32_e32 v7, v4, v7, vcc
.LBB0_4:                                ;   in Loop: Header=BB0_2 Depth=1
	s_andn2_saveexec_b64 s[0:1], s[20:21]
	s_cbranch_execz .LBB0_6
; %bb.5:                                ;   in Loop: Header=BB0_2 Depth=1
	v_cvt_f32_u32_e32 v4, s18
	s_sub_i32 s20, 0, s18
	v_rcp_iflag_f32_e32 v4, v4
	v_mul_f32_e32 v4, 0x4f7ffffe, v4
	v_cvt_u32_f32_e32 v4, v4
	v_mul_lo_u32 v7, s20, v4
	v_mul_hi_u32 v7, v4, v7
	v_add_u32_e32 v4, v4, v7
	v_mul_hi_u32 v4, v5, v4
	v_mul_lo_u32 v7, v4, s18
	v_add_u32_e32 v8, 1, v4
	v_sub_u32_e32 v7, v5, v7
	v_subrev_u32_e32 v9, s18, v7
	v_cmp_le_u32_e32 vcc, s18, v7
	v_cndmask_b32_e32 v7, v7, v9, vcc
	v_cndmask_b32_e32 v4, v4, v8, vcc
	v_add_u32_e32 v8, 1, v4
	v_cmp_le_u32_e32 vcc, s18, v7
	v_cndmask_b32_e32 v7, v4, v8, vcc
	v_mov_b32_e32 v8, v3
.LBB0_6:                                ;   in Loop: Header=BB0_2 Depth=1
	s_or_b64 exec, exec, s[0:1]
	v_mul_lo_u32 v4, v8, s18
	v_mul_lo_u32 v11, v7, s19
	v_mad_u64_u32 v[9:10], s[0:1], v7, s18, 0
	s_load_dwordx2 s[0:1], s[6:7], 0x0
	s_add_u32 s16, s16, 1
	v_add3_u32 v4, v10, v11, v4
	v_sub_co_u32_e32 v5, vcc, v5, v9
	v_subb_co_u32_e32 v4, vcc, v6, v4, vcc
	s_waitcnt lgkmcnt(0)
	v_mul_lo_u32 v4, s0, v4
	v_mul_lo_u32 v6, s1, v5
	v_mad_u64_u32 v[1:2], s[0:1], s0, v5, v[1:2]
	s_addc_u32 s17, s17, 0
	s_add_u32 s6, s6, 8
	v_add3_u32 v2, v6, v2, v4
	v_mov_b32_e32 v4, s10
	v_mov_b32_e32 v5, s11
	s_addc_u32 s7, s7, 0
	v_cmp_ge_u64_e32 vcc, s[16:17], v[4:5]
	s_add_u32 s14, s14, 8
	s_addc_u32 s15, s15, 0
	s_cbranch_vccnz .LBB0_9
; %bb.7:                                ;   in Loop: Header=BB0_2 Depth=1
	v_mov_b32_e32 v5, v7
	v_mov_b32_e32 v6, v8
	s_branch .LBB0_2
.LBB0_8:
	v_mov_b32_e32 v8, v6
	v_mov_b32_e32 v7, v5
.LBB0_9:
	s_lshl_b64 s[0:1], s[10:11], 3
	s_add_u32 s0, s2, s0
	s_addc_u32 s1, s3, s1
	s_load_dwordx2 s[2:3], s[0:1], 0x0
	s_load_dwordx2 s[6:7], s[4:5], 0x20
	s_waitcnt lgkmcnt(0)
	v_mad_u64_u32 v[1:2], s[0:1], s2, v7, v[1:2]
	s_mov_b32 s0, 0x226b903
	v_mul_lo_u32 v3, s2, v8
	v_mul_lo_u32 v4, s3, v7
	v_mul_hi_u32 v5, v0, s0
	v_cmp_gt_u64_e64 s[0:1], s[6:7], v[7:8]
	v_add3_u32 v2, v4, v2, v3
	v_mul_u32_u24_e32 v3, 0x77, v5
	v_sub_u32_e32 v32, v0, v3
	v_lshlrev_b64 v[34:35], 3, v[1:2]
	v_lshl_add_u32 v50, v32, 3, 0
	s_and_saveexec_b64 s[2:3], s[0:1]
	s_cbranch_execz .LBB0_11
; %bb.10:
	v_mov_b32_e32 v33, 0
	v_mov_b32_e32 v0, s13
	v_add_co_u32_e32 v2, vcc, s12, v34
	v_addc_co_u32_e32 v3, vcc, v0, v35, vcc
	v_lshlrev_b64 v[0:1], 3, v[32:33]
	s_movk_i32 s4, 0x1000
	v_add_co_u32_e32 v0, vcc, v2, v0
	v_addc_co_u32_e32 v1, vcc, v3, v1, vcc
	v_add_co_u32_e32 v4, vcc, s4, v0
	v_addc_co_u32_e32 v5, vcc, 0, v1, vcc
	s_movk_i32 s4, 0x2000
	v_add_co_u32_e32 v20, vcc, s4, v0
	v_addc_co_u32_e32 v21, vcc, 0, v1, vcc
	global_load_dwordx2 v[2:3], v[0:1], off offset:2856
	global_load_dwordx2 v[6:7], v[0:1], off offset:3808
	;; [unrolled: 1-line block ×5, first 2 shown]
	global_load_dwordx2 v[14:15], v[0:1], off
	global_load_dwordx2 v[16:17], v[0:1], off offset:1904
	global_load_dwordx2 v[18:19], v[0:1], off offset:952
	v_add_co_u32_e32 v0, vcc, 0x3000, v0
	global_load_dwordx2 v[22:23], v[4:5], off offset:3520
	global_load_dwordx2 v[24:25], v[20:21], off offset:376
	global_load_dwordx2 v[26:27], v[20:21], off offset:1328
	global_load_dwordx2 v[28:29], v[20:21], off offset:2280
	v_addc_co_u32_e32 v1, vcc, 0, v1, vcc
	global_load_dwordx2 v[4:5], v[20:21], off offset:3232
	global_load_dwordx2 v[30:31], v[0:1], off offset:88
	;; [unrolled: 1-line block ×4, first 2 shown]
	v_add_u32_e32 v0, 0x400, v50
	v_add_u32_e32 v1, 0xc00, v50
	;; [unrolled: 1-line block ×7, first 2 shown]
	s_waitcnt vmcnt(9)
	ds_write2_b64 v0, v[16:17], v[2:3] offset0:110 offset1:229
	s_waitcnt vmcnt(8)
	ds_write2_b64 v50, v[14:15], v[18:19] offset1:119
	ds_write2_b64 v1, v[6:7], v[8:9] offset0:92 offset1:211
	ds_write2_b64 v20, v[10:11], v[12:13] offset0:74 offset1:193
	s_waitcnt vmcnt(6)
	ds_write2_b64 v21, v[22:23], v[24:25] offset0:56 offset1:175
	s_waitcnt vmcnt(4)
	;; [unrolled: 2-line block ×4, first 2 shown]
	ds_write2_b64 v41, v[36:37], v[38:39] offset0:130 offset1:249
.LBB0_11:
	s_or_b64 exec, exec, s[2:3]
	s_waitcnt lgkmcnt(0)
	s_barrier
	ds_read2_b64 v[0:3], v50 offset1:112
	ds_read_b64 v[38:39], v50 offset:14336
	v_add_u32_e32 v54, 0x400, v50
	v_add_u32_e32 v33, 0x3000, v50
	ds_read2_b64 v[8:11], v54 offset0:96 offset1:208
	ds_read2_b64 v[4:7], v33 offset0:32 offset1:144
	s_waitcnt lgkmcnt(2)
	v_sub_f32_e32 v114, v3, v39
	v_add_f32_e32 v61, v38, v2
	s_mov_b32 s4, 0x3f6eb680
	v_mul_f32_e32 v57, 0xbeb8f4ab, v114
	s_waitcnt lgkmcnt(0)
	v_sub_f32_e32 v120, v9, v7
	v_add_f32_e32 v69, v39, v3
	v_fma_f32 v12, v61, s4, -v57
	v_add_f32_e32 v63, v6, v8
	s_mov_b32 s6, 0x3f3d2fb0
	v_mul_f32_e32 v58, 0xbf2c7751, v120
	v_add_f32_e32 v12, v0, v12
	v_fma_f32 v13, v63, s6, -v58
	v_mul_f32_e32 v60, 0x3f6eb680, v69
	v_add_f32_e32 v76, v7, v9
	v_add_f32_e32 v12, v13, v12
	v_sub_f32_e32 v70, v2, v38
	v_mov_b32_e32 v13, v60
	v_mul_f32_e32 v62, 0x3f3d2fb0, v76
	v_fmac_f32_e32 v13, 0xbeb8f4ab, v70
	v_sub_f32_e32 v71, v8, v6
	v_mov_b32_e32 v14, v62
	v_sub_f32_e32 v131, v11, v5
	v_add_f32_e32 v13, v1, v13
	v_fmac_f32_e32 v14, 0xbf2c7751, v71
	s_mov_b32 s5, 0x3ee437d1
	v_add_f32_e32 v66, v4, v10
	v_mul_f32_e32 v59, 0xbf65296c, v131
	v_add_f32_e32 v20, v14, v13
	v_fma_f32 v13, v66, s5, -v59
	v_add_u32_e32 v55, 0xc00, v50
	v_add_f32_e32 v21, v13, v12
	v_add_u32_e32 v51, 0x2800, v50
	ds_read2_b64 v[16:19], v55 offset0:64 offset1:176
	ds_read2_b64 v[12:15], v51 offset0:64 offset1:176
	v_add_f32_e32 v79, v5, v11
	v_mul_f32_e32 v64, 0x3ee437d1, v79
	v_sub_f32_e32 v75, v10, v4
	v_mov_b32_e32 v22, v64
	s_waitcnt lgkmcnt(0)
	v_sub_f32_e32 v132, v17, v15
	v_fmac_f32_e32 v22, 0xbf65296c, v75
	s_mov_b32 s10, 0x3dbcf732
	v_add_f32_e32 v72, v14, v16
	v_mul_f32_e32 v65, 0xbf7ee86f, v132
	v_add_f32_e32 v83, v15, v17
	v_add_f32_e32 v20, v22, v20
	v_fma_f32 v22, v72, s10, -v65
	v_mul_f32_e32 v68, 0x3dbcf732, v83
	v_add_f32_e32 v21, v22, v21
	v_sub_f32_e32 v81, v16, v14
	v_mov_b32_e32 v22, v68
	v_sub_f32_e32 v133, v19, v13
	v_fmac_f32_e32 v22, 0xbf7ee86f, v81
	s_mov_b32 s7, 0xbe8c1d8e
	v_add_f32_e32 v77, v12, v18
	v_mul_f32_e32 v67, 0xbf763a35, v133
	v_add_f32_e32 v28, v22, v20
	v_fma_f32 v20, v77, s7, -v67
	v_add_u32_e32 v56, 0x1400, v50
	v_add_f32_e32 v29, v20, v21
	v_add_u32_e32 v52, 0x2000, v50
	ds_read2_b64 v[24:27], v56 offset0:32 offset1:144
	ds_read2_b64 v[20:23], v52 offset0:96 offset1:208
	v_add_f32_e32 v88, v13, v19
	v_mul_f32_e32 v73, 0xbe8c1d8e, v88
	v_sub_f32_e32 v86, v18, v12
	v_mov_b32_e32 v30, v73
	s_waitcnt lgkmcnt(0)
	v_sub_f32_e32 v134, v25, v23
	v_fmac_f32_e32 v30, 0xbf763a35, v86
	s_mov_b32 s11, 0xbf1a4643
	v_add_f32_e32 v82, v22, v24
	v_mul_f32_e32 v74, 0xbf4c4adb, v134
	v_add_f32_e32 v91, v23, v25
	v_add_f32_e32 v28, v30, v28
	v_fma_f32 v30, v82, s11, -v74
	v_mul_f32_e32 v80, 0xbf1a4643, v91
	v_add_f32_e32 v29, v30, v29
	v_sub_f32_e32 v90, v24, v22
	v_mov_b32_e32 v30, v80
	v_sub_f32_e32 v135, v27, v21
	v_fmac_f32_e32 v30, 0xbf4c4adb, v90
	s_mov_b32 s14, 0xbf59a7d5
	v_add_f32_e32 v87, v20, v26
	v_mul_f32_e32 v78, 0xbf06c442, v135
	v_add_f32_e32 v36, v30, v28
	v_fma_f32 v28, v87, s14, -v78
	v_add_u32_e32 v53, 0x1800, v50
	v_add_f32_e32 v37, v28, v29
	ds_read2_b64 v[28:31], v53 offset0:128 offset1:240
	v_add_f32_e32 v93, v21, v27
	v_mul_f32_e32 v85, 0xbf59a7d5, v93
	v_sub_f32_e32 v94, v26, v20
	v_mov_b32_e32 v40, v85
	s_waitcnt lgkmcnt(0)
	v_sub_f32_e32 v136, v29, v31
	v_fmac_f32_e32 v40, 0xbf06c442, v94
	s_mov_b32 s15, 0xbf7ba420
	v_add_f32_e32 v92, v30, v28
	v_mul_f32_e32 v84, 0xbe3c28d5, v136
	v_add_f32_e32 v95, v31, v29
	v_add_f32_e32 v40, v40, v36
	v_fma_f32 v36, v92, s15, -v84
	v_mul_f32_e32 v89, 0xbf7ba420, v95
	v_add_f32_e32 v36, v36, v37
	v_sub_f32_e32 v96, v28, v30
	v_mov_b32_e32 v37, v89
	v_fmac_f32_e32 v37, 0xbe3c28d5, v96
	s_movk_i32 s2, 0x70
	v_add_f32_e32 v37, v37, v40
	v_cmp_gt_u32_e32 vcc, s2, v32
	s_barrier
	s_and_saveexec_b64 s[2:3], vcc
	s_cbranch_execz .LBB0_13
; %bb.12:
	v_mul_f32_e32 v111, 0xbf2c7751, v70
	v_mov_b32_e32 v40, v111
	v_mul_f32_e32 v112, 0xbf7ee86f, v71
	v_fmac_f32_e32 v40, 0x3f3d2fb0, v69
	v_mov_b32_e32 v41, v112
	v_add_f32_e32 v40, v1, v40
	v_fmac_f32_e32 v41, 0x3dbcf732, v76
	v_mul_f32_e32 v110, 0xbf4c4adb, v75
	v_add_f32_e32 v40, v41, v40
	v_mov_b32_e32 v41, v110
	v_fmac_f32_e32 v41, 0xbf1a4643, v79
	v_mul_f32_e32 v109, 0xbe3c28d5, v81
	v_add_f32_e32 v40, v41, v40
	v_mov_b32_e32 v41, v109
	;; [unrolled: 4-line block ×6, first 2 shown]
	v_fmac_f32_e32 v41, 0x3f6eb680, v95
	v_mul_f32_e32 v99, 0xbf2c7751, v114
	v_add_f32_e32 v41, v41, v40
	v_fma_f32 v40, v61, s6, -v99
	v_mul_f32_e32 v100, 0xbf7ee86f, v120
	v_add_f32_e32 v40, v0, v40
	v_fma_f32 v42, v63, s10, -v100
	;; [unrolled: 3-line block ×8, first 2 shown]
	v_mul_f32_e32 v113, 0xbf65296c, v70
	v_add_f32_e32 v40, v42, v40
	v_mov_b32_e32 v42, v113
	v_mul_f32_e32 v115, 0xbf4c4adb, v71
	v_fmac_f32_e32 v42, 0x3ee437d1, v69
	v_mov_b32_e32 v43, v115
	v_add_f32_e32 v42, v1, v42
	v_fmac_f32_e32 v43, 0xbf1a4643, v76
	v_mul_f32_e32 v116, 0x3e3c28d5, v75
	v_add_f32_e32 v42, v43, v42
	v_mov_b32_e32 v43, v116
	v_fmac_f32_e32 v43, 0xbf7ba420, v79
	v_mul_f32_e32 v117, 0x3f763a35, v81
	v_add_f32_e32 v42, v43, v42
	v_mov_b32_e32 v43, v117
	v_fmac_f32_e32 v43, 0xbe8c1d8e, v83
	v_mul_f32_e32 v118, 0x3f2c7751, v86
	v_add_f32_e32 v42, v43, v42
	v_mov_b32_e32 v43, v118
	v_fmac_f32_e32 v43, 0x3f3d2fb0, v88
	v_mul_f32_e32 v119, 0xbeb8f4ab, v90
	v_add_f32_e32 v42, v43, v42
	v_mov_b32_e32 v43, v119
	v_fmac_f32_e32 v43, 0x3f6eb680, v91
	v_mul_f32_e32 v121, 0xbf7ee86f, v94
	v_add_f32_e32 v42, v43, v42
	v_mov_b32_e32 v43, v121
	v_fmac_f32_e32 v43, 0x3dbcf732, v93
	v_mul_f32_e32 v123, 0xbf65296c, v114
	v_add_f32_e32 v42, v43, v42
	v_fma_f32 v43, v61, s5, -v123
	v_mul_f32_e32 v124, 0xbf4c4adb, v120
	v_add_f32_e32 v43, v0, v43
	v_fma_f32 v44, v63, s11, -v124
	v_mul_f32_e32 v125, 0x3e3c28d5, v131
	v_add_f32_e32 v43, v44, v43
	v_fma_f32 v44, v66, s15, -v125
	v_mul_f32_e32 v126, 0x3f763a35, v132
	v_add_f32_e32 v43, v44, v43
	v_fma_f32 v44, v72, s7, -v126
	v_mul_f32_e32 v127, 0x3f2c7751, v133
	v_add_f32_e32 v43, v44, v43
	v_fma_f32 v44, v77, s6, -v127
	v_mul_f32_e32 v128, 0xbeb8f4ab, v134
	v_add_f32_e32 v43, v44, v43
	v_fma_f32 v44, v82, s4, -v128
	v_mul_f32_e32 v129, 0xbf7ee86f, v135
	v_add_f32_e32 v43, v44, v43
	v_fma_f32 v44, v87, s10, -v129
	v_mul_f32_e32 v122, 0xbf06c442, v96
	v_add_f32_e32 v44, v44, v43
	v_mov_b32_e32 v43, v122
	v_fmac_f32_e32 v43, 0xbf59a7d5, v95
	v_mul_f32_e32 v130, 0xbf06c442, v136
	v_add_f32_e32 v43, v43, v42
	v_fma_f32 v42, v92, s14, -v130
	v_mul_f32_e32 v143, 0xbf7ee86f, v70
	v_add_f32_e32 v42, v42, v44
	v_mov_b32_e32 v44, v143
	v_mul_f32_e32 v144, 0xbe3c28d5, v71
	v_fmac_f32_e32 v44, 0x3dbcf732, v69
	v_mov_b32_e32 v45, v144
	v_add_f32_e32 v44, v1, v44
	v_fmac_f32_e32 v45, 0xbf7ba420, v76
	v_mul_f32_e32 v145, 0x3f763a35, v75
	v_add_f32_e32 v44, v45, v44
	v_mov_b32_e32 v45, v145
	v_fmac_f32_e32 v45, 0xbe8c1d8e, v79
	v_mul_f32_e32 v146, 0x3eb8f4ab, v81
	v_add_f32_e32 v44, v45, v44
	v_mov_b32_e32 v45, v146
	v_fmac_f32_e32 v45, 0x3f6eb680, v83
	v_mul_f32_e32 v147, 0xbf65296c, v86
	v_add_f32_e32 v44, v45, v44
	v_mov_b32_e32 v45, v147
	v_fmac_f32_e32 v45, 0x3ee437d1, v88
	v_mul_f32_e32 v148, 0xbf06c442, v90
	v_add_f32_e32 v44, v45, v44
	v_mov_b32_e32 v45, v148
	v_fmac_f32_e32 v45, 0xbf59a7d5, v91
	v_mul_f32_e32 v149, 0x3f4c4adb, v94
	v_add_f32_e32 v44, v45, v44
	v_mov_b32_e32 v45, v149
	v_fmac_f32_e32 v45, 0xbf1a4643, v93
	v_mul_f32_e32 v150, 0xbf7ee86f, v114
	v_add_f32_e32 v44, v45, v44
	v_fma_f32 v45, v61, s10, -v150
	v_mul_f32_e32 v151, 0xbe3c28d5, v120
	v_add_f32_e32 v45, v0, v45
	v_fma_f32 v46, v63, s15, -v151
	v_mul_f32_e32 v152, 0x3f763a35, v131
	v_add_f32_e32 v45, v46, v45
	v_fma_f32 v46, v66, s7, -v152
	v_mul_f32_e32 v153, 0x3eb8f4ab, v132
	v_add_f32_e32 v45, v46, v45
	v_fma_f32 v46, v72, s4, -v153
	v_mul_f32_e32 v154, 0xbf65296c, v133
	v_add_f32_e32 v45, v46, v45
	v_fma_f32 v46, v77, s5, -v154
	v_mul_f32_e32 v155, 0xbf06c442, v134
	v_add_f32_e32 v45, v46, v45
	v_fma_f32 v46, v82, s14, -v155
	v_mul_f32_e32 v156, 0x3f4c4adb, v135
	v_add_f32_e32 v45, v46, v45
	v_fma_f32 v46, v87, s11, -v156
	v_mul_f32_e32 v157, 0x3f2c7751, v96
	v_add_f32_e32 v46, v46, v45
	v_mov_b32_e32 v45, v157
	v_fmac_f32_e32 v45, 0x3f3d2fb0, v95
	v_mul_f32_e32 v158, 0x3f2c7751, v136
	v_add_f32_e32 v45, v45, v44
	v_fma_f32 v44, v92, s6, -v158
	;; [unrolled: 56-line block ×4, first 2 shown]
	v_mul_f32_e32 v187, 0xbf06c442, v70
	v_add_f32_e32 v48, v48, v137
	v_mov_b32_e32 v137, v187
	v_mul_f32_e32 v188, 0x3f65296c, v71
	v_fmac_f32_e32 v137, 0xbf59a7d5, v69
	v_mov_b32_e32 v138, v188
	v_add_f32_e32 v137, v1, v137
	v_fmac_f32_e32 v138, 0x3ee437d1, v76
	v_mul_f32_e32 v189, 0xbf7ee86f, v75
	v_add_f32_e32 v137, v138, v137
	v_mov_b32_e32 v138, v189
	v_fmac_f32_e32 v138, 0x3dbcf732, v79
	v_mul_f32_e32 v190, 0x3f4c4adb, v81
	v_add_f32_e32 v137, v138, v137
	v_mov_b32_e32 v138, v190
	;; [unrolled: 4-line block ×5, first 2 shown]
	v_fmac_f32_e32 v138, 0x3f3d2fb0, v93
	v_mul_f32_e32 v194, 0xbf06c442, v114
	v_add_f32_e32 v137, v138, v137
	v_fma_f32 v138, v61, s14, -v194
	v_mul_f32_e32 v195, 0x3f65296c, v120
	v_add_f32_e32 v138, v0, v138
	v_fma_f32 v196, v63, s5, -v195
	v_add_f32_e32 v138, v196, v138
	v_mul_f32_e32 v196, 0xbf7ee86f, v131
	v_fma_f32 v197, v66, s10, -v196
	v_add_f32_e32 v138, v197, v138
	v_mul_f32_e32 v197, 0x3f4c4adb, v132
	;; [unrolled: 3-line block ×5, first 2 shown]
	v_fma_f32 v201, v87, s6, -v200
	v_mul_f32_e32 v202, 0xbf763a35, v96
	v_add_f32_e32 v201, v201, v138
	v_mov_b32_e32 v138, v202
	v_fmac_f32_e32 v138, 0xbe8c1d8e, v95
	v_mul_f32_e32 v203, 0xbf763a35, v136
	v_add_f32_e32 v138, v138, v137
	v_fma_f32 v137, v92, s7, -v203
	v_add_f32_e32 v137, v137, v201
	v_mul_f32_e32 v201, 0xbe3c28d5, v70
	v_mov_b32_e32 v204, v201
	v_mul_f32_e32 v205, 0x3eb8f4ab, v71
	v_fmac_f32_e32 v204, 0xbf7ba420, v69
	v_mov_b32_e32 v206, v205
	v_add_f32_e32 v204, v1, v204
	v_fmac_f32_e32 v206, 0x3f6eb680, v76
	v_add_f32_e32 v204, v206, v204
	v_mul_f32_e32 v206, 0xbf06c442, v75
	v_mov_b32_e32 v207, v206
	v_fmac_f32_e32 v207, 0xbf59a7d5, v79
	v_add_f32_e32 v204, v207, v204
	v_mul_f32_e32 v207, 0x3f2c7751, v81
	v_mov_b32_e32 v208, v207
	;; [unrolled: 4-line block ×5, first 2 shown]
	v_fmac_f32_e32 v211, 0xbe8c1d8e, v93
	v_mul_f32_e32 v114, 0xbe3c28d5, v114
	v_add_f32_e32 v204, v211, v204
	v_fma_f32 v211, v61, s15, -v114
	v_mul_f32_e32 v120, 0x3eb8f4ab, v120
	v_add_f32_e32 v211, v0, v211
	v_fma_f32 v212, v63, s4, -v120
	v_add_f32_e32 v211, v212, v211
	v_mul_f32_e32 v212, 0xbf06c442, v131
	v_fma_f32 v131, v66, s14, -v212
	v_add_f32_e32 v131, v131, v211
	v_mul_f32_e32 v211, 0x3f2c7751, v132
	v_fma_f32 v132, v72, s6, -v211
	v_mul_f32_e32 v133, 0xbf4c4adb, v133
	v_add_f32_e32 v131, v132, v131
	v_fma_f32 v132, v77, s11, -v133
	v_mul_f32_e32 v134, 0x3f65296c, v134
	v_add_f32_e32 v131, v132, v131
	;; [unrolled: 3-line block ×4, first 2 shown]
	v_mov_b32_e32 v132, v213
	v_fmac_f32_e32 v132, 0x3dbcf732, v95
	v_mul_f32_e32 v136, 0x3f7ee86f, v136
	v_fmac_f32_e32 v114, 0xbf7ba420, v61
	v_add_f32_e32 v132, v132, v204
	v_fma_f32 v204, v92, s10, -v136
	v_fma_f32 v201, v69, s15, -v201
	v_add_f32_e32 v114, v0, v114
	v_fmac_f32_e32 v120, 0x3f6eb680, v63
	v_add_f32_e32 v131, v204, v131
	v_add_f32_e32 v201, v1, v201
	v_fma_f32 v204, v76, s4, -v205
	v_add_f32_e32 v114, v120, v114
	v_fmac_f32_e32 v212, 0xbf59a7d5, v66
	v_add_f32_e32 v201, v204, v201
	v_fma_f32 v204, v79, s14, -v206
	v_add_f32_e32 v114, v212, v114
	v_fmac_f32_e32 v211, 0x3f3d2fb0, v72
	;; [unrolled: 4-line block ×6, first 2 shown]
	v_add_f32_e32 v201, v204, v201
	v_fma_f32 v120, v95, s10, -v213
	v_add_f32_e32 v133, v136, v114
	v_fma_f32 v114, v69, s14, -v187
	v_add_f32_e32 v134, v120, v201
	v_add_f32_e32 v114, v1, v114
	v_fma_f32 v120, v76, s5, -v188
	v_add_f32_e32 v114, v120, v114
	v_fma_f32 v120, v79, s10, -v189
	v_add_f32_e32 v114, v120, v114
	v_fma_f32 v120, v83, s11, -v190
	v_add_f32_e32 v114, v120, v114
	v_fma_f32 v120, v88, s4, -v191
	v_add_f32_e32 v114, v120, v114
	v_fma_f32 v120, v91, s15, -v192
	v_add_f32_e32 v114, v120, v114
	v_fma_f32 v120, v93, s6, -v193
	v_fmac_f32_e32 v194, 0xbf59a7d5, v61
	v_add_f32_e32 v114, v120, v114
	v_add_f32_e32 v120, v0, v194
	v_fmac_f32_e32 v195, 0x3ee437d1, v63
	v_add_f32_e32 v120, v195, v120
	v_fmac_f32_e32 v196, 0x3dbcf732, v66
	v_add_f32_e32 v120, v196, v120
	v_fmac_f32_e32 v197, 0xbf1a4643, v72
	v_add_f32_e32 v120, v197, v120
	v_fmac_f32_e32 v198, 0x3f6eb680, v77
	v_add_f32_e32 v120, v198, v120
	v_fmac_f32_e32 v199, 0xbf7ba420, v82
	v_add_f32_e32 v120, v199, v120
	v_fmac_f32_e32 v200, 0x3f3d2fb0, v87
	v_fma_f32 v135, v95, s7, -v202
	v_add_f32_e32 v120, v200, v120
	v_add_f32_e32 v136, v135, v114
	v_fmac_f32_e32 v203, 0xbe8c1d8e, v92
	v_fma_f32 v114, v69, s11, -v139
	v_add_f32_e32 v135, v203, v120
	v_add_f32_e32 v114, v1, v114
	v_fma_f32 v120, v76, s7, -v140
	v_add_f32_e32 v114, v120, v114
	v_fma_f32 v120, v79, s4, -v173
	v_add_f32_e32 v114, v120, v114
	v_fma_f32 v120, v83, s14, -v174
	v_add_f32_e32 v114, v120, v114
	v_fma_f32 v120, v88, s10, -v175
	v_add_f32_e32 v114, v120, v114
	v_fma_f32 v120, v91, s6, -v176
	v_add_f32_e32 v114, v120, v114
	v_fma_f32 v120, v93, s15, -v177
	v_fmac_f32_e32 v178, 0xbf1a4643, v61
	v_add_f32_e32 v114, v120, v114
	v_add_f32_e32 v120, v0, v178
	v_fmac_f32_e32 v179, 0xbe8c1d8e, v63
	v_add_f32_e32 v120, v179, v120
	v_fmac_f32_e32 v180, 0x3f6eb680, v66
	v_add_f32_e32 v120, v180, v120
	v_fmac_f32_e32 v181, 0xbf59a7d5, v72
	v_add_f32_e32 v120, v181, v120
	v_fmac_f32_e32 v182, 0x3dbcf732, v77
	v_add_f32_e32 v120, v182, v120
	v_fmac_f32_e32 v183, 0x3f3d2fb0, v82
	v_add_f32_e32 v120, v183, v120
	v_fmac_f32_e32 v184, 0xbf7ba420, v87
	v_fma_f32 v139, v95, s5, -v185
	v_add_f32_e32 v120, v184, v120
	v_add_f32_e32 v140, v139, v114
	v_fmac_f32_e32 v186, 0x3ee437d1, v92
	;; [unrolled: 32-line block ×3, first 2 shown]
	v_fma_f32 v114, v69, s10, -v143
	v_add_f32_e32 v141, v172, v120
	v_add_f32_e32 v114, v1, v114
	v_fma_f32 v120, v76, s15, -v144
	v_add_f32_e32 v114, v120, v114
	v_fma_f32 v120, v79, s7, -v145
	;; [unrolled: 2-line block ×7, first 2 shown]
	v_fma_f32 v113, v69, s5, -v113
	v_add_f32_e32 v144, v143, v114
	v_add_f32_e32 v113, v1, v113
	v_fma_f32 v114, v76, s11, -v115
	v_add_f32_e32 v113, v114, v113
	v_fma_f32 v114, v79, s15, -v116
	v_fma_f32 v69, v69, s6, -v111
	v_add_f32_e32 v113, v114, v113
	v_fma_f32 v114, v83, s7, -v117
	v_fma_f32 v76, v76, s10, -v112
	v_add_f32_e32 v69, v1, v69
	v_add_f32_e32 v113, v114, v113
	v_fma_f32 v114, v88, s6, -v118
	v_add_f32_e32 v69, v76, v69
	v_fma_f32 v76, v79, s11, -v110
	;; [unrolled: 2-line block ×3, first 2 shown]
	v_add_f32_e32 v69, v76, v69
	v_mul_f32_e32 v76, 0x3f6eb680, v61
	v_mul_f32_e32 v79, 0xbeb8f4ab, v70
	v_fmac_f32_e32 v150, 0x3dbcf732, v61
	v_add_f32_e32 v113, v114, v113
	v_fma_f32 v114, v93, s10, -v121
	v_fmac_f32_e32 v123, 0x3ee437d1, v61
	v_fmac_f32_e32 v99, 0x3f3d2fb0, v61
	v_sub_f32_e32 v60, v60, v79
	v_add_f32_e32 v57, v76, v57
	v_add_f32_e32 v120, v0, v150
	;; [unrolled: 1-line block ×9, first 2 shown]
	v_fmac_f32_e32 v100, 0x3dbcf732, v63
	v_add_f32_e32 v1, v1, v9
	v_add_f32_e32 v0, v0, v8
	;; [unrolled: 1-line block ×3, first 2 shown]
	v_fmac_f32_e32 v101, 0xbf1a4643, v66
	v_add_f32_e32 v1, v1, v11
	v_add_f32_e32 v0, v0, v10
	v_fma_f32 v70, v83, s15, -v109
	v_add_f32_e32 v61, v101, v61
	v_fmac_f32_e32 v102, 0xbf7ba420, v72
	v_add_f32_e32 v1, v1, v17
	v_add_f32_e32 v0, v0, v16
	v_add_f32_e32 v69, v70, v69
	v_fma_f32 v70, v88, s14, -v108
	v_add_f32_e32 v61, v102, v61
	v_fmac_f32_e32 v103, 0xbf59a7d5, v77
	v_add_f32_e32 v1, v1, v19
	;; [unrolled: 6-line block ×4, first 2 shown]
	v_add_f32_e32 v0, v0, v26
	v_mul_f32_e32 v83, 0x3f3d2fb0, v63
	v_mul_f32_e32 v71, 0xbf2c7751, v71
	v_add_f32_e32 v69, v70, v69
	v_fma_f32 v70, v95, s4, -v98
	v_add_f32_e32 v61, v105, v61
	v_fmac_f32_e32 v106, 0x3f6eb680, v92
	v_add_f32_e32 v1, v1, v29
	v_add_f32_e32 v0, v0, v28
	v_mul_f32_e32 v109, 0x3ee437d1, v66
	v_mul_f32_e32 v75, 0xbf65296c, v75
	v_add_f32_e32 v70, v70, v69
	v_add_f32_e32 v69, v106, v61
	v_sub_f32_e32 v61, v62, v71
	v_add_f32_e32 v58, v83, v58
	v_add_f32_e32 v1, v1, v31
	;; [unrolled: 1-line block ×3, first 2 shown]
	v_fmac_f32_e32 v151, 0xbf7ba420, v63
	v_fmac_f32_e32 v124, 0xbf1a4643, v63
	v_mul_f32_e32 v88, 0x3dbcf732, v72
	v_mul_f32_e32 v81, 0xbf7ee86f, v81
	v_add_f32_e32 v60, v61, v60
	v_sub_f32_e32 v61, v64, v75
	v_add_f32_e32 v57, v58, v57
	v_add_f32_e32 v58, v109, v59
	v_add_f32_e32 v1, v1, v21
	v_add_f32_e32 v0, v0, v20
	v_add_f32_e32 v120, v151, v120
	v_fmac_f32_e32 v152, 0xbe8c1d8e, v66
	v_add_f32_e32 v114, v124, v114
	v_fmac_f32_e32 v125, 0xbf7ba420, v66
	v_mul_f32_e32 v108, 0xbe8c1d8e, v77
	v_mul_f32_e32 v86, 0xbf763a35, v86
	v_add_f32_e32 v60, v61, v60
	v_sub_f32_e32 v61, v68, v81
	v_add_f32_e32 v57, v58, v57
	v_add_f32_e32 v58, v88, v65
	v_add_f32_e32 v1, v1, v23
	v_add_f32_e32 v0, v0, v22
	v_add_f32_e32 v120, v152, v120
	v_fmac_f32_e32 v153, 0x3f6eb680, v72
	v_add_f32_e32 v114, v125, v114
	;; [unrolled: 12-line block ×5, first 2 shown]
	v_fmac_f32_e32 v129, 0x3dbcf732, v87
	v_add_f32_e32 v60, v61, v60
	v_sub_f32_e32 v61, v89, v96
	v_add_f32_e32 v57, v58, v57
	v_add_f32_e32 v58, v93, v84
	;; [unrolled: 1-line block ×5, first 2 shown]
	v_fmac_f32_e32 v158, 0x3f3d2fb0, v92
	v_add_f32_e32 v115, v129, v114
	v_fma_f32 v114, v95, s14, -v122
	v_fmac_f32_e32 v130, 0xbf59a7d5, v92
	v_add_f32_e32 v60, v61, v60
	v_add_f32_e32 v59, v58, v57
	;; [unrolled: 1-line block ×4, first 2 shown]
	v_lshl_add_u32 v2, v32, 7, v50
	v_add_f32_e32 v143, v158, v120
	v_add_f32_e32 v114, v114, v113
	;; [unrolled: 1-line block ×3, first 2 shown]
	ds_write2_b64 v2, v[0:1], v[59:60] offset1:1
	ds_write2_b64 v2, v[69:70], v[113:114] offset0:2 offset1:3
	ds_write2_b64 v2, v[143:144], v[141:142] offset0:4 offset1:5
	;; [unrolled: 1-line block ×7, first 2 shown]
	ds_write_b64 v2, v[36:37] offset:128
.LBB0_13:
	s_or_b64 exec, exec, s[2:3]
	s_movk_i32 s2, 0xf1
	v_mul_lo_u16_sdwa v70, v32, s2 dst_sel:DWORD dst_unused:UNUSED_PAD src0_sel:BYTE_0 src1_sel:DWORD
	v_lshrrev_b16_e32 v71, 12, v70
	v_add_u16_e32 v49, 0x77, v32
	v_mul_lo_u16_e32 v0, 17, v71
	v_mul_lo_u16_sdwa v73, v49, s2 dst_sel:DWORD dst_unused:UNUSED_PAD src0_sel:BYTE_0 src1_sel:DWORD
	v_add_u32_e32 v46, 0xee, v32
	v_sub_u16_e32 v0, v32, v0
	v_mov_b32_e32 v48, 3
	v_lshrrev_b16_e32 v74, 12, v73
	s_mov_b32 s2, 0xf0f1
	v_lshlrev_b32_sdwa v72, v48, v0 dst_sel:DWORD dst_unused:UNUSED_PAD src0_sel:DWORD src1_sel:BYTE_0
	v_mul_lo_u16_e32 v0, 17, v74
	v_mul_u32_u24_sdwa v47, v46, s2 dst_sel:DWORD dst_unused:UNUSED_PAD src0_sel:WORD_0 src1_sel:DWORD
	v_add_u32_e32 v65, 0x165, v32
	v_sub_u16_e32 v0, v49, v0
	v_lshrrev_b32_e32 v76, 20, v47
	v_lshlrev_b32_sdwa v75, v48, v0 dst_sel:DWORD dst_unused:UNUSED_PAD src0_sel:DWORD src1_sel:BYTE_0
	v_mul_lo_u16_e32 v0, 17, v76
	v_mul_u32_u24_sdwa v78, v65, s2 dst_sel:DWORD dst_unused:UNUSED_PAD src0_sel:WORD_0 src1_sel:DWORD
	v_add_u32_e32 v66, 0x1dc, v32
	v_sub_u16_e32 v0, v46, v0
	v_lshrrev_b32_e32 v79, 20, v78
	v_lshlrev_b32_e32 v77, 3, v0
	v_mul_lo_u16_e32 v0, 17, v79
	v_mul_u32_u24_sdwa v81, v66, s2 dst_sel:DWORD dst_unused:UNUSED_PAD src0_sel:WORD_0 src1_sel:DWORD
	v_add_u32_e32 v67, 0x253, v32
	v_sub_u16_e32 v0, v65, v0
	v_lshrrev_b32_e32 v82, 20, v81
	v_lshlrev_b32_e32 v80, 3, v0
	;; [unrolled: 6-line block ×4, first 2 shown]
	v_mul_lo_u16_e32 v0, 17, v88
	v_mul_u32_u24_sdwa v90, v69, s2 dst_sel:DWORD dst_unused:UNUSED_PAD src0_sel:WORD_0 src1_sel:DWORD
	v_sub_u16_e32 v0, v68, v0
	v_lshrrev_b32_e32 v91, 20, v90
	s_waitcnt lgkmcnt(0)
	s_barrier
	global_load_dwordx2 v[38:39], v72, s[8:9]
	global_load_dwordx2 v[40:41], v75, s[8:9]
	;; [unrolled: 1-line block ×4, first 2 shown]
	v_lshlrev_b32_e32 v89, 3, v0
	v_mul_lo_u16_e32 v0, 17, v91
	global_load_dwordx2 v[57:58], v83, s[8:9]
	global_load_dwordx2 v[59:60], v86, s[8:9]
	;; [unrolled: 1-line block ×3, first 2 shown]
	v_sub_u16_e32 v0, v69, v0
	v_lshlrev_b32_e32 v92, 3, v0
	global_load_dwordx2 v[63:64], v92, s[8:9]
	v_add_u32_e32 v93, 0x1c00, v50
	ds_read2_b64 v[0:3], v50 offset1:119
	ds_read2_b64 v[4:7], v54 offset0:110 offset1:229
	v_add_u32_e32 v94, 0x2400, v50
	ds_read2_b64 v[8:11], v55 offset0:92 offset1:211
	v_add_u32_e32 v95, 0x2c00, v50
	ds_read2_b64 v[12:15], v93 offset0:56 offset1:175
	ds_read2_b64 v[16:19], v56 offset0:74 offset1:193
	;; [unrolled: 1-line block ×5, first 2 shown]
	s_waitcnt vmcnt(0) lgkmcnt(0)
	s_barrier
	v_lshrrev_b16_e32 v70, 13, v70
	v_cmp_gt_u32_e32 vcc, 34, v32
	v_mul_f32_e32 v97, v41, v15
	v_mul_f32_e32 v96, v39, v13
	;; [unrolled: 1-line block ×7, first 2 shown]
	v_fmac_f32_e32 v96, v38, v12
	v_fmac_f32_e32 v99, v44, v26
	v_mul_f32_e32 v26, v29, v58
	v_mul_f32_e32 v12, v28, v58
	v_fmac_f32_e32 v98, v42, v24
	v_fma_f32 v24, v42, v25, -v43
	v_fma_f32 v25, v44, v27, -v45
	v_fmac_f32_e32 v26, v28, v57
	v_fma_f32 v27, v29, v57, -v12
	v_mul_f32_e32 v28, v31, v60
	v_mul_f32_e32 v12, v30, v60
	v_fma_f32 v13, v38, v13, -v39
	v_fmac_f32_e32 v28, v30, v59
	v_fma_f32 v29, v31, v59, -v12
	v_mul_f32_e32 v30, v21, v62
	v_mul_f32_e32 v12, v20, v62
	;; [unrolled: 1-line block ×3, first 2 shown]
	v_fmac_f32_e32 v30, v20, v61
	v_fma_f32 v31, v21, v61, -v12
	v_fmac_f32_e32 v38, v22, v63
	v_mul_f32_e32 v12, v22, v64
	v_mul_f32_e32 v41, v41, v14
	v_fma_f32 v39, v23, v63, -v12
	v_sub_f32_e32 v12, v0, v96
	v_sub_f32_e32 v13, v1, v13
	;; [unrolled: 1-line block ×7, first 2 shown]
	v_mul_u32_u24_e32 v38, 0x110, v71
	v_fmac_f32_e32 v97, v40, v14
	v_fma_f32 v15, v40, v15, -v41
	v_fma_f32 v0, v0, 2.0, -v12
	v_fma_f32 v1, v1, 2.0, -v13
	v_add3_u32 v38, 0, v38, v72
	v_sub_f32_e32 v14, v2, v97
	v_sub_f32_e32 v15, v3, v15
	ds_write2_b64 v38, v[0:1], v[12:13] offset1:17
	v_mul_u32_u24_e32 v0, 0x110, v74
	v_fma_f32 v2, v2, 2.0, -v14
	v_fma_f32 v3, v3, 2.0, -v15
	v_add3_u32 v0, 0, v0, v75
	v_sub_f32_e32 v20, v4, v98
	ds_write2_b64 v0, v[2:3], v[14:15] offset1:17
	v_mul_u32_u24_e32 v0, 0x110, v76
	v_fma_f32 v4, v4, 2.0, -v20
	v_fma_f32 v5, v5, 2.0, -v21
	v_add3_u32 v0, 0, v0, v77
	v_sub_f32_e32 v22, v6, v99
	v_sub_f32_e32 v23, v7, v25
	ds_write2_b64 v0, v[4:5], v[20:21] offset1:17
	v_mul_u32_u24_e32 v0, 0x110, v79
	v_fma_f32 v6, v6, 2.0, -v22
	v_fma_f32 v7, v7, 2.0, -v23
	v_add3_u32 v0, 0, v0, v80
	v_sub_f32_e32 v25, v9, v27
	ds_write2_b64 v0, v[6:7], v[22:23] offset1:17
	v_mul_u32_u24_e32 v0, 0x110, v82
	v_fma_f32 v8, v8, 2.0, -v24
	v_fma_f32 v9, v9, 2.0, -v25
	v_add3_u32 v0, 0, v0, v83
	;; [unrolled: 6-line block ×5, first 2 shown]
	ds_write2_b64 v0, v[18:19], v[30:31] offset1:17
	v_mul_lo_u16_e32 v0, 34, v70
	v_sub_u16_e32 v0, v32, v0
	v_lshrrev_b16_e32 v72, 13, v73
	v_lshlrev_b32_sdwa v71, v48, v0 dst_sel:DWORD dst_unused:UNUSED_PAD src0_sel:DWORD src1_sel:BYTE_0
	v_mul_lo_u16_e32 v0, 34, v72
	v_sub_u16_e32 v0, v49, v0
	v_lshrrev_b32_e32 v74, 21, v47
	v_lshlrev_b32_sdwa v73, v48, v0 dst_sel:DWORD dst_unused:UNUSED_PAD src0_sel:DWORD src1_sel:BYTE_0
	v_mul_lo_u16_e32 v0, 34, v74
	v_sub_u16_e32 v0, v46, v0
	v_lshrrev_b32_e32 v76, 21, v78
	v_lshlrev_b32_e32 v75, 3, v0
	v_mul_lo_u16_e32 v0, 34, v76
	v_sub_u16_e32 v0, v65, v0
	v_lshrrev_b32_e32 v77, 21, v81
	v_lshlrev_b32_e32 v65, 3, v0
	v_mul_lo_u16_e32 v0, 34, v77
	s_waitcnt lgkmcnt(0)
	s_barrier
	global_load_dwordx2 v[38:39], v71, s[8:9] offset:136
	global_load_dwordx2 v[40:41], v73, s[8:9] offset:136
	v_sub_u16_e32 v0, v66, v0
	v_lshrrev_b32_e32 v78, 21, v84
	v_lshlrev_b32_e32 v66, 3, v0
	v_mul_lo_u16_e32 v0, 34, v78
	v_sub_u16_e32 v0, v67, v0
	v_lshrrev_b32_e32 v79, 21, v87
	v_lshlrev_b32_e32 v67, 3, v0
	v_mul_lo_u16_e32 v0, 34, v79
	global_load_dwordx2 v[42:43], v75, s[8:9] offset:136
	global_load_dwordx2 v[44:45], v65, s[8:9] offset:136
	v_sub_u16_e32 v0, v68, v0
	v_lshrrev_b32_e32 v80, 21, v90
	global_load_dwordx2 v[57:58], v66, s[8:9] offset:136
	global_load_dwordx2 v[59:60], v67, s[8:9] offset:136
	v_lshlrev_b32_e32 v68, 3, v0
	global_load_dwordx2 v[61:62], v68, s[8:9] offset:136
	v_mul_lo_u16_e32 v0, 34, v80
	v_sub_u16_e32 v0, v69, v0
	v_lshlrev_b32_e32 v69, 3, v0
	global_load_dwordx2 v[63:64], v69, s[8:9] offset:136
	ds_read2_b64 v[0:3], v50 offset1:119
	ds_read2_b64 v[4:7], v93 offset0:56 offset1:175
	ds_read2_b64 v[8:11], v54 offset0:110 offset1:229
	;; [unrolled: 1-line block ×7, first 2 shown]
	s_waitcnt vmcnt(0) lgkmcnt(0)
	s_barrier
	v_mul_f32_e32 v54, v39, v5
	v_fmac_f32_e32 v54, v38, v4
	v_mul_f32_e32 v4, v39, v4
	v_fma_f32 v5, v38, v5, -v4
	v_mul_f32_e32 v4, v41, v6
	v_mul_f32_e32 v38, v41, v7
	v_fma_f32 v7, v40, v7, -v4
	v_fmac_f32_e32 v38, v40, v6
	v_sub_f32_e32 v5, v1, v5
	v_mul_f32_e32 v4, v43, v12
	v_mul_f32_e32 v39, v43, v13
	v_fma_f32 v13, v42, v13, -v4
	v_mul_f32_e32 v4, v45, v14
	v_mul_f32_e32 v40, v45, v15
	v_fma_f32 v15, v44, v15, -v4
	;; [unrolled: 3-line block ×3, first 2 shown]
	v_mul_f32_e32 v4, v22, v60
	v_fmac_f32_e32 v39, v42, v12
	v_mul_f32_e32 v42, v23, v60
	v_fma_f32 v23, v23, v59, -v4
	v_mul_f32_e32 v43, v29, v62
	v_mul_f32_e32 v4, v28, v62
	v_fmac_f32_e32 v43, v28, v61
	v_fma_f32 v28, v29, v61, -v4
	v_mul_f32_e32 v29, v31, v64
	v_fmac_f32_e32 v29, v30, v63
	v_mul_f32_e32 v4, v30, v64
	v_sub_f32_e32 v30, v26, v29
	v_fma_f32 v31, v31, v63, -v4
	v_sub_f32_e32 v4, v0, v54
	v_sub_f32_e32 v12, v8, v39
	;; [unrolled: 1-line block ×3, first 2 shown]
	v_fma_f32 v28, v26, 2.0, -v30
	v_mul_u32_u24_e32 v26, 0x220, v70
	v_fma_f32 v0, v0, 2.0, -v4
	v_fma_f32 v1, v1, 2.0, -v5
	v_add3_u32 v26, 0, v26, v71
	v_sub_f32_e32 v6, v2, v38
	v_sub_f32_e32 v7, v3, v7
	ds_write2_b64 v26, v[0:1], v[4:5] offset1:34
	v_mul_u32_u24_e32 v0, 0x220, v72
	v_fma_f32 v2, v2, 2.0, -v6
	v_fma_f32 v3, v3, 2.0, -v7
	v_add3_u32 v0, 0, v0, v73
	v_sub_f32_e32 v13, v9, v13
	ds_write2_b64 v0, v[2:3], v[6:7] offset1:34
	v_mul_u32_u24_e32 v0, 0x220, v74
	v_fmac_f32_e32 v40, v44, v14
	v_fma_f32 v8, v8, 2.0, -v12
	v_fma_f32 v9, v9, 2.0, -v13
	v_add3_u32 v0, 0, v0, v75
	v_sub_f32_e32 v14, v10, v40
	v_sub_f32_e32 v15, v11, v15
	ds_write2_b64 v0, v[8:9], v[12:13] offset1:34
	v_mul_u32_u24_e32 v0, 0x220, v76
	v_fmac_f32_e32 v41, v20, v57
	v_fma_f32 v10, v10, 2.0, -v14
	v_fma_f32 v11, v11, 2.0, -v15
	v_add3_u32 v0, 0, v0, v65
	v_sub_f32_e32 v20, v16, v41
	;; [unrolled: 8-line block ×3, first 2 shown]
	v_sub_f32_e32 v23, v19, v23
	ds_write2_b64 v0, v[16:17], v[20:21] offset1:34
	v_mul_u32_u24_e32 v0, 0x220, v78
	v_fma_f32 v18, v18, 2.0, -v22
	v_fma_f32 v19, v19, 2.0, -v23
	v_add3_u32 v0, 0, v0, v67
	v_sub_f32_e32 v38, v24, v43
	ds_write2_b64 v0, v[18:19], v[22:23] offset1:34
	v_mul_u32_u24_e32 v0, 0x220, v79
	v_fma_f32 v24, v24, 2.0, -v38
	v_fma_f32 v25, v25, 2.0, -v39
	v_add3_u32 v0, 0, v0, v68
	v_sub_f32_e32 v31, v27, v31
	ds_write2_b64 v0, v[24:25], v[38:39] offset1:34
	v_mul_u32_u24_e32 v0, 0x220, v80
	v_fma_f32 v29, v27, 2.0, -v31
	v_add3_u32 v0, 0, v0, v69
	v_add_u32_e32 v4, 0x800, v50
	v_add_u32_e32 v8, 0x1000, v50
	ds_write2_b64 v0, v[28:29], v[30:31] offset1:34
	s_waitcnt lgkmcnt(0)
	s_barrier
	ds_read2_b64 v[0:3], v50 offset1:119
	ds_read2_b64 v[4:7], v4 offset0:16 offset1:135
	ds_read2_b64 v[8:11], v8 offset0:32 offset1:151
	;; [unrolled: 1-line block ×6, first 2 shown]
                                        ; implicit-def: $vgpr39
                                        ; implicit-def: $vgpr45
                                        ; implicit-def: $vgpr43
                                        ; implicit-def: $vgpr41
	s_and_saveexec_b64 s[2:3], vcc
	s_cbranch_execz .LBB0_15
; %bb.14:
	ds_read_b64 v[28:29], v50 offset:1904
	ds_read_b64 v[30:31], v50 offset:4080
	;; [unrolled: 1-line block ×7, first 2 shown]
.LBB0_15:
	s_or_b64 exec, exec, s[2:3]
	s_movk_i32 s2, 0x44
	v_add_u32_e32 v33, 0xffffffbc, v32
	v_cmp_gt_u32_e64 s[2:3], s2, v32
	v_cndmask_b32_e64 v33, v33, v32, s[2:3]
	v_mul_i32_i24_e32 v51, 6, v33
	v_mov_b32_e32 v52, 0
	v_lshlrev_b64 v[51:52], 3, v[51:52]
	v_mov_b32_e32 v53, s9
	v_add_co_u32_e64 v63, s[2:3], s8, v51
	v_addc_co_u32_e64 v64, s[2:3], v53, v52, s[2:3]
	s_movk_i32 s2, 0x79
	global_load_dwordx4 v[51:54], v[63:64], off offset:408
	global_load_dwordx4 v[55:58], v[63:64], off offset:424
	;; [unrolled: 1-line block ×3, first 2 shown]
	v_mul_lo_u16_sdwa v64, v49, s2 dst_sel:DWORD dst_unused:UNUSED_PAD src0_sel:BYTE_0 src1_sel:DWORD
	v_lshrrev_b16_e32 v75, 13, v64
	v_mul_lo_u16_e32 v64, 0x44, v75
	v_mov_b32_e32 v63, 6
	v_sub_u16_e32 v49, v49, v64
	v_mul_u32_u24_sdwa v63, v49, v63 dst_sel:DWORD dst_unused:UNUSED_PAD src0_sel:BYTE_0 src1_sel:DWORD
	v_lshlrev_b32_e32 v76, 3, v63
	global_load_dwordx4 v[63:66], v76, s[8:9] offset:408
	global_load_dwordx4 v[67:70], v76, s[8:9] offset:424
	;; [unrolled: 1-line block ×3, first 2 shown]
	s_mov_b32 s4, 0xbf5ff5aa
	s_mov_b32 s5, 0x3f3bfb3b
	;; [unrolled: 1-line block ×4, first 2 shown]
	s_movk_i32 s2, 0x43
	v_cmp_lt_u32_e64 s[2:3], s2, v32
	v_lshlrev_b32_e32 v33, 3, v33
	s_waitcnt vmcnt(0) lgkmcnt(0)
	s_barrier
	v_mul_f32_e32 v76, v52, v5
	v_mul_f32_e32 v77, v54, v9
	;; [unrolled: 1-line block ×12, first 2 shown]
	v_fmac_f32_e32 v76, v51, v4
	v_fmac_f32_e32 v77, v53, v8
	;; [unrolled: 1-line block ×5, first 2 shown]
	v_fma_f32 v12, v59, v21, -v60
	v_fmac_f32_e32 v81, v61, v24
	v_mul_f32_e32 v16, v64, v7
	v_mul_f32_e32 v21, v66, v10
	v_fma_f32 v4, v51, v5, -v52
	v_fma_f32 v5, v53, v9, -v54
	;; [unrolled: 1-line block ×5, first 2 shown]
	v_mul_f32_e32 v17, v64, v6
	v_mul_f32_e32 v20, v66, v11
	;; [unrolled: 1-line block ×3, first 2 shown]
	v_fmac_f32_e32 v16, v63, v6
	v_fma_f32 v21, v65, v11, -v21
	v_add_f32_e32 v6, v76, v81
	v_add_f32_e32 v11, v77, v80
	v_mul_f32_e32 v24, v15, v68
	v_mul_f32_e32 v55, v27, v74
	v_fma_f32 v17, v63, v7, -v17
	v_fma_f32 v25, v15, v67, -v25
	v_add_f32_e32 v7, v4, v13
	v_sub_f32_e32 v4, v4, v13
	v_add_f32_e32 v13, v5, v12
	v_sub_f32_e32 v5, v5, v12
	v_add_f32_e32 v12, v78, v79
	v_add_f32_e32 v15, v8, v9
	v_sub_f32_e32 v8, v9, v8
	v_add_f32_e32 v9, v11, v6
	v_mul_f32_e32 v51, v19, v70
	v_mul_f32_e32 v52, v18, v70
	;; [unrolled: 1-line block ×5, first 2 shown]
	v_fmac_f32_e32 v55, v26, v73
	v_add_f32_e32 v26, v13, v7
	v_add_f32_e32 v9, v12, v9
	v_fmac_f32_e32 v20, v65, v10
	v_fmac_f32_e32 v24, v14, v67
	;; [unrolled: 1-line block ×3, first 2 shown]
	v_fma_f32 v18, v19, v69, -v52
	v_fmac_f32_e32 v53, v22, v71
	v_fma_f32 v19, v23, v71, -v54
	v_fma_f32 v22, v27, v73, -v56
	v_sub_f32_e32 v10, v76, v81
	v_sub_f32_e32 v14, v77, v80
	;; [unrolled: 1-line block ×6, first 2 shown]
	v_add_f32_e32 v12, v15, v26
	v_add_f32_e32 v0, v9, v0
	v_sub_f32_e32 v52, v13, v7
	v_sub_f32_e32 v7, v7, v15
	;; [unrolled: 1-line block ×3, first 2 shown]
	v_add_f32_e32 v54, v23, v14
	v_add_f32_e32 v56, v8, v5
	v_sub_f32_e32 v57, v23, v14
	v_sub_f32_e32 v58, v8, v5
	;; [unrolled: 1-line block ×4, first 2 shown]
	v_add_f32_e32 v1, v12, v1
	v_mov_b32_e32 v59, v0
	v_sub_f32_e32 v23, v10, v23
	v_sub_f32_e32 v8, v4, v8
	v_add_f32_e32 v10, v54, v10
	v_add_f32_e32 v4, v56, v4
	v_mul_f32_e32 v6, 0x3f4a47b2, v6
	v_mul_f32_e32 v7, 0x3f4a47b2, v7
	;; [unrolled: 1-line block ×8, first 2 shown]
	v_fmac_f32_e32 v59, 0xbf955555, v9
	v_mov_b32_e32 v9, v1
	v_fmac_f32_e32 v9, 0xbf955555, v12
	v_fma_f32 v12, v27, s5, -v15
	v_fma_f32 v15, v52, s5, -v26
	;; [unrolled: 1-line block ×3, first 2 shown]
	v_fmac_f32_e32 v6, 0x3d64c772, v11
	v_fma_f32 v11, v52, s6, -v7
	v_fmac_f32_e32 v7, 0x3d64c772, v13
	v_fma_f32 v13, v14, s4, -v54
	;; [unrolled: 2-line block ×3, first 2 shown]
	v_fma_f32 v23, v23, s7, -v57
	v_fma_f32 v27, v8, s7, -v58
	v_fmac_f32_e32 v56, 0xbeae86e6, v8
	v_add_f32_e32 v12, v12, v59
	v_add_f32_e32 v15, v15, v9
	v_add_f32_e32 v26, v26, v59
	v_add_f32_e32 v58, v11, v9
	v_fmac_f32_e32 v13, 0xbee1c552, v10
	v_fmac_f32_e32 v14, 0xbee1c552, v4
	;; [unrolled: 1-line block ×4, first 2 shown]
	v_add_f32_e32 v52, v6, v59
	v_add_f32_e32 v57, v7, v9
	v_fmac_f32_e32 v54, 0xbee1c552, v10
	v_fmac_f32_e32 v56, 0xbee1c552, v4
	v_add_f32_e32 v6, v27, v26
	v_sub_f32_e32 v7, v58, v23
	v_sub_f32_e32 v8, v12, v14
	v_add_f32_e32 v9, v13, v15
	v_add_f32_e32 v10, v14, v12
	v_sub_f32_e32 v11, v15, v13
	v_sub_f32_e32 v12, v26, v27
	v_add_f32_e32 v13, v23, v58
	v_add_f32_e32 v23, v16, v55
	;; [unrolled: 1-line block ×3, first 2 shown]
	v_sub_f32_e32 v17, v17, v22
	v_add_f32_e32 v22, v20, v53
	v_add_f32_e32 v4, v56, v52
	v_sub_f32_e32 v14, v52, v56
	v_add_f32_e32 v27, v21, v19
	v_sub_f32_e32 v19, v21, v19
	v_add_f32_e32 v21, v24, v51
	v_add_f32_e32 v52, v25, v18
	v_sub_f32_e32 v18, v18, v25
	v_add_f32_e32 v25, v22, v23
	v_sub_f32_e32 v20, v20, v53
	v_sub_f32_e32 v24, v51, v24
	v_add_f32_e32 v51, v27, v26
	v_sub_f32_e32 v53, v22, v23
	v_sub_f32_e32 v23, v23, v21
	v_sub_f32_e32 v22, v21, v22
	v_add_f32_e32 v21, v21, v25
	v_sub_f32_e32 v16, v16, v55
	v_add_f32_e32 v25, v52, v51
	v_add_f32_e32 v2, v21, v2
	v_sub_f32_e32 v5, v57, v54
	v_add_f32_e32 v15, v54, v57
	v_sub_f32_e32 v54, v27, v26
	v_sub_f32_e32 v26, v26, v52
	;; [unrolled: 1-line block ×3, first 2 shown]
	v_add_f32_e32 v55, v24, v20
	v_add_f32_e32 v56, v18, v19
	v_sub_f32_e32 v57, v24, v20
	v_sub_f32_e32 v58, v18, v19
	;; [unrolled: 1-line block ×3, first 2 shown]
	v_add_f32_e32 v3, v25, v3
	v_mov_b32_e32 v59, v2
	v_sub_f32_e32 v24, v16, v24
	v_sub_f32_e32 v18, v17, v18
	;; [unrolled: 1-line block ×3, first 2 shown]
	v_add_f32_e32 v16, v55, v16
	v_add_f32_e32 v17, v56, v17
	v_mul_f32_e32 v23, 0x3f4a47b2, v23
	v_mul_f32_e32 v26, 0x3f4a47b2, v26
	;; [unrolled: 1-line block ×7, first 2 shown]
	v_fmac_f32_e32 v59, 0xbf955555, v21
	v_mov_b32_e32 v21, v3
	v_fmac_f32_e32 v21, 0xbf955555, v25
	v_fma_f32 v25, v53, s5, -v51
	v_fma_f32 v51, v54, s5, -v52
	;; [unrolled: 1-line block ×3, first 2 shown]
	v_fmac_f32_e32 v23, 0x3d64c772, v22
	v_fma_f32 v22, v54, s6, -v26
	v_fmac_f32_e32 v26, 0x3d64c772, v27
	v_fma_f32 v27, v20, s4, -v55
	v_fma_f32 v53, v19, s4, -v56
	;; [unrolled: 1-line block ×3, first 2 shown]
	v_mul_f32_e32 v58, 0xbf5ff5aa, v19
	v_add_f32_e32 v57, v23, v59
	v_add_f32_e32 v23, v25, v59
	;; [unrolled: 1-line block ×4, first 2 shown]
	v_fmac_f32_e32 v27, 0xbee1c552, v16
	v_fmac_f32_e32 v53, 0xbee1c552, v17
	;; [unrolled: 1-line block ×4, first 2 shown]
	v_fma_f32 v24, v18, s7, -v58
	v_add_f32_e32 v58, v26, v21
	v_sub_f32_e32 v19, v51, v54
	v_sub_f32_e32 v20, v23, v53
	v_add_f32_e32 v21, v27, v25
	v_add_f32_e32 v22, v53, v23
	v_sub_f32_e32 v23, v25, v27
	v_add_f32_e32 v25, v54, v51
	v_mov_b32_e32 v51, 0xee0
	v_cndmask_b32_e64 v51, 0, v51, s[2:3]
	v_add3_u32 v33, 0, v51, v33
	ds_write2_b64 v33, v[0:1], v[4:5] offset1:68
	ds_write2_b64 v33, v[6:7], v[8:9] offset0:136 offset1:204
	v_add_u32_e32 v0, 0x800, v33
	v_fmac_f32_e32 v56, 0xbeae86e6, v18
	ds_write2_b64 v0, v[10:11], v[12:13] offset0:16 offset1:84
	ds_write_b64 v33, v[14:15] offset:3264
	v_mul_u32_u24_e32 v0, 0xee0, v75
	v_lshlrev_b32_sdwa v1, v48, v49 dst_sel:DWORD dst_unused:UNUSED_PAD src0_sel:DWORD src1_sel:BYTE_0
	v_add_f32_e32 v26, v52, v59
	v_fmac_f32_e32 v55, 0xbee1c552, v16
	v_fmac_f32_e32 v56, 0xbee1c552, v17
	;; [unrolled: 1-line block ×3, first 2 shown]
	v_add3_u32 v0, 0, v0, v1
	v_add_f32_e32 v16, v56, v57
	v_sub_f32_e32 v17, v58, v55
	v_add_f32_e32 v18, v24, v26
	v_sub_f32_e32 v24, v26, v24
	v_add_u32_e32 v1, 0x800, v0
	v_sub_f32_e32 v26, v57, v56
	v_add_f32_e32 v27, v55, v58
	ds_write2_b64 v0, v[2:3], v[16:17] offset1:68
	ds_write2_b64 v0, v[18:19], v[20:21] offset0:136 offset1:204
	ds_write2_b64 v1, v[22:23], v[24:25] offset0:16 offset1:84
	ds_write_b64 v0, v[26:27] offset:3264
	s_and_saveexec_b64 s[2:3], vcc
	s_cbranch_execz .LBB0_17
; %bb.16:
	v_lshrrev_b32_e32 v0, 22, v47
	v_mul_lo_u16_e32 v0, 0x44, v0
	v_sub_u16_e32 v14, v46, v0
	v_mul_u32_u24_e32 v0, 6, v14
	v_lshlrev_b32_e32 v12, 3, v0
	global_load_dwordx4 v[0:3], v12, s[8:9] offset:408
	global_load_dwordx4 v[4:7], v12, s[8:9] offset:440
	;; [unrolled: 1-line block ×3, first 2 shown]
	v_lshl_add_u32 v14, v14, 3, 0
	s_waitcnt vmcnt(2)
	v_mul_f32_e32 v12, v31, v1
	s_waitcnt vmcnt(1)
	v_mul_f32_e32 v13, v45, v7
	;; [unrolled: 2-line block ×3, first 2 shown]
	v_mul_f32_e32 v16, v41, v9
	v_mul_f32_e32 v17, v37, v3
	;; [unrolled: 1-line block ×9, first 2 shown]
	v_fmac_f32_e32 v12, v30, v0
	v_fmac_f32_e32 v13, v44, v6
	;; [unrolled: 1-line block ×6, first 2 shown]
	v_fma_f32 v6, v45, v6, -v7
	v_fma_f32 v0, v31, v0, -v1
	v_fma_f32 v1, v41, v8, -v9
	v_fma_f32 v7, v39, v10, -v11
	v_fma_f32 v4, v43, v4, -v5
	v_fma_f32 v2, v37, v2, -v3
	v_sub_f32_e32 v3, v12, v13
	v_sub_f32_e32 v5, v15, v16
	;; [unrolled: 1-line block ×3, first 2 shown]
	v_add_f32_e32 v9, v0, v6
	v_add_f32_e32 v10, v1, v7
	;; [unrolled: 1-line block ×6, first 2 shown]
	v_sub_f32_e32 v6, v0, v6
	v_sub_f32_e32 v0, v7, v1
	;; [unrolled: 1-line block ×5, first 2 shown]
	v_add_f32_e32 v5, v5, v8
	v_sub_f32_e32 v7, v9, v10
	v_add_f32_e32 v17, v11, v9
	v_sub_f32_e32 v18, v12, v13
	;; [unrolled: 2-line block ×3, first 2 shown]
	v_sub_f32_e32 v19, v13, v15
	v_sub_f32_e32 v21, v6, v0
	;; [unrolled: 1-line block ×3, first 2 shown]
	v_add_f32_e32 v0, v0, v4
	v_sub_f32_e32 v8, v8, v3
	v_sub_f32_e32 v9, v11, v9
	;; [unrolled: 1-line block ×3, first 2 shown]
	v_add_f32_e32 v15, v5, v3
	v_mul_f32_e32 v3, 0x3f4a47b2, v7
	v_add_f32_e32 v5, v10, v17
	v_mul_f32_e32 v10, 0x3f4a47b2, v18
	;; [unrolled: 2-line block ×3, first 2 shown]
	v_mul_f32_e32 v18, 0x3f08b237, v22
	v_add_f32_e32 v20, v0, v6
	v_mov_b32_e32 v24, v3
	v_add_f32_e32 v1, v29, v5
	v_mov_b32_e32 v25, v10
	v_add_f32_e32 v0, v28, v13
	v_mul_f32_e32 v7, 0x3d64c772, v16
	v_mul_f32_e32 v17, 0x3d64c772, v19
	v_mov_b32_e32 v23, v12
	v_mov_b32_e32 v26, v18
	v_fmac_f32_e32 v24, 0x3d64c772, v16
	v_mov_b32_e32 v16, v1
	v_fmac_f32_e32 v25, 0x3d64c772, v19
	v_mov_b32_e32 v19, v0
	v_sub_f32_e32 v6, v4, v6
	v_mul_f32_e32 v22, 0xbf5ff5aa, v8
	v_fmac_f32_e32 v23, 0xbeae86e6, v2
	v_fmac_f32_e32 v26, 0xbeae86e6, v21
	;; [unrolled: 1-line block ×4, first 2 shown]
	v_mul_f32_e32 v4, 0xbf5ff5aa, v6
	v_fma_f32 v7, v9, s5, -v7
	v_fma_f32 v8, v8, s4, -v12
	;; [unrolled: 1-line block ×6, first 2 shown]
	v_fmac_f32_e32 v23, 0xbee1c552, v15
	v_fmac_f32_e32 v26, 0xbee1c552, v20
	v_add_f32_e32 v13, v24, v16
	v_add_f32_e32 v24, v25, v19
	v_fma_f32 v10, v11, s6, -v10
	v_fma_f32 v21, v21, s7, -v4
	v_add_f32_e32 v9, v7, v16
	v_fmac_f32_e32 v8, 0xbee1c552, v15
	v_fmac_f32_e32 v12, 0xbee1c552, v20
	v_add_f32_e32 v11, v6, v19
	v_fmac_f32_e32 v22, 0xbee1c552, v15
	v_add_f32_e32 v25, v3, v16
	v_add_f32_e32 v3, v23, v13
	;; [unrolled: 1-line block ×3, first 2 shown]
	v_fmac_f32_e32 v21, 0xbee1c552, v20
	v_sub_f32_e32 v7, v9, v8
	v_add_f32_e32 v6, v12, v11
	v_add_f32_e32 v9, v8, v9
	v_sub_f32_e32 v8, v11, v12
	v_sub_f32_e32 v13, v13, v23
	v_add_f32_e32 v12, v26, v24
	v_add_u32_e32 v15, 0x2800, v14
	v_sub_f32_e32 v4, v10, v21
	v_sub_f32_e32 v11, v25, v22
	v_add_f32_e32 v10, v21, v10
	ds_write2_b64 v15, v[0:1], v[12:13] offset0:148 offset1:216
	v_add_u32_e32 v0, 0x3000, v14
	v_sub_f32_e32 v2, v24, v26
	v_add_f32_e32 v5, v22, v25
	ds_write2_b64 v0, v[10:11], v[8:9] offset0:28 offset1:96
	ds_write2_b64 v0, v[6:7], v[4:5] offset0:164 offset1:232
	ds_write_b64 v14, v[2:3] offset:14688
.LBB0_17:
	s_or_b64 exec, exec, s[2:3]
	v_mul_u32_u24_e32 v0, 3, v32
	v_lshlrev_b32_e32 v4, 3, v0
	v_mov_b32_e32 v0, s9
	v_add_co_u32_e32 v20, vcc, s8, v4
	v_addc_co_u32_e32 v21, vcc, 0, v0, vcc
	s_movk_i32 s2, 0x1980
	v_add_co_u32_e32 v8, vcc, s2, v20
	v_addc_co_u32_e32 v9, vcc, 0, v21, vcc
	s_movk_i32 s2, 0x1000
	;; [unrolled: 3-line block ×3, first 2 shown]
	s_waitcnt lgkmcnt(0)
	s_barrier
	global_load_dwordx2 v[48:49], v4, s[8:9] offset:3688
	global_load_dwordx4 v[0:3], v4, s[8:9] offset:3672
	v_add_co_u32_e32 v16, vcc, s2, v20
	v_addc_co_u32_e32 v17, vcc, 0, v21, vcc
	s_movk_i32 s2, 0x24a8
	global_load_dwordx4 v[4:7], v[10:11], off offset:2432
	global_load_dwordx2 v[55:56], v[8:9], off offset:16
	v_add_co_u32_e32 v18, vcc, s2, v20
	global_load_dwordx4 v[8:11], v[16:17], off offset:1192
	v_addc_co_u32_e32 v19, vcc, 0, v21, vcc
	s_movk_i32 s2, 0x2fd0
	global_load_dwordx2 v[57:58], v[18:19], off offset:16
	global_load_dwordx4 v[12:15], v[16:17], off offset:4048
	v_add_co_u32_e32 v16, vcc, s2, v20
	v_addc_co_u32_e32 v17, vcc, 0, v21, vcc
	global_load_dwordx2 v[59:60], v[16:17], off offset:16
	v_add_u32_e32 v33, 0xc00, v50
	ds_read2_b64 v[16:19], v50 offset1:119
	v_add_u32_e32 v61, 0x1c00, v50
	v_add_u32_e32 v62, 0x2c00, v50
	;; [unrolled: 1-line block ×6, first 2 shown]
	ds_read2_b64 v[20:23], v33 offset0:92 offset1:211
	ds_read2_b64 v[24:27], v61 offset0:56 offset1:175
	;; [unrolled: 1-line block ×7, first 2 shown]
	s_waitcnt vmcnt(0) lgkmcnt(0)
	s_barrier
	s_add_u32 s4, s8, 0x3af8
	s_addc_u32 s5, s9, 0
	v_cmp_ne_u32_e32 vcc, 0, v32
	v_mul_f32_e32 v69, v49, v29
	v_mul_f32_e32 v67, v1, v21
	;; [unrolled: 1-line block ×5, first 2 shown]
	v_fmac_f32_e32 v67, v0, v20
	v_fma_f32 v0, v0, v21, -v1
	v_fma_f32 v1, v2, v25, -v3
	v_mul_f32_e32 v20, v5, v23
	v_mul_f32_e32 v3, v5, v22
	v_mul_f32_e32 v49, v49, v28
	v_fmac_f32_e32 v20, v4, v22
	v_fma_f32 v22, v4, v23, -v3
	v_mul_f32_e32 v3, v44, v11
	v_fmac_f32_e32 v68, v2, v24
	v_fma_f32 v2, v48, v29, -v49
	v_mul_f32_e32 v21, v27, v7
	v_mul_f32_e32 v5, v26, v7
	;; [unrolled: 1-line block ×3, first 2 shown]
	v_fma_f32 v29, v45, v10, -v3
	v_mul_f32_e32 v3, v51, v58
	v_mul_f32_e32 v24, v31, v56
	v_mul_f32_e32 v25, v41, v9
	v_mul_f32_e32 v9, v40, v9
	v_fmac_f32_e32 v21, v26, v6
	v_fma_f32 v26, v31, v55, -v7
	v_fma_f32 v31, v52, v57, -v3
	v_mul_f32_e32 v3, v42, v13
	v_fmac_f32_e32 v69, v48, v28
	v_fma_f32 v23, v27, v6, -v5
	v_fma_f32 v27, v41, v8, -v9
	;; [unrolled: 1-line block ×3, first 2 shown]
	v_mul_f32_e32 v3, v46, v15
	v_fmac_f32_e32 v25, v40, v8
	v_mul_f32_e32 v28, v45, v11
	v_mul_f32_e32 v40, v43, v13
	v_fma_f32 v43, v47, v14, -v3
	v_mul_f32_e32 v3, v53, v60
	v_sub_f32_e32 v6, v16, v68
	v_sub_f32_e32 v7, v17, v1
	;; [unrolled: 1-line block ×4, first 2 shown]
	v_fmac_f32_e32 v24, v30, v55
	v_fmac_f32_e32 v28, v44, v10
	v_mul_f32_e32 v30, v52, v58
	v_fmac_f32_e32 v40, v42, v12
	v_mul_f32_e32 v42, v47, v15
	v_mul_f32_e32 v44, v54, v60
	v_fma_f32 v45, v54, v59, -v3
	v_fma_f32 v3, v16, 2.0, -v6
	v_fma_f32 v4, v17, 2.0, -v7
	;; [unrolled: 1-line block ×4, first 2 shown]
	v_fmac_f32_e32 v30, v51, v57
	v_fmac_f32_e32 v42, v46, v14
	;; [unrolled: 1-line block ×3, first 2 shown]
	v_sub_f32_e32 v0, v3, v1
	v_sub_f32_e32 v1, v4, v2
	;; [unrolled: 1-line block ×6, first 2 shown]
	v_fma_f32 v2, v3, 2.0, -v0
	v_fma_f32 v3, v4, 2.0, -v1
	v_add_f32_e32 v4, v6, v8
	v_fma_f32 v10, v18, 2.0, -v14
	v_fma_f32 v11, v19, 2.0, -v15
	v_fma_f32 v8, v20, 2.0, -v13
	v_fma_f32 v9, v22, 2.0, -v12
	v_sub_f32_e32 v22, v36, v28
	v_sub_f32_e32 v23, v37, v29
	v_sub_f32_e32 v21, v25, v30
	v_sub_f32_e32 v20, v27, v31
	v_sub_f32_e32 v30, v38, v42
	v_sub_f32_e32 v31, v39, v43
	v_sub_f32_e32 v29, v40, v44
	v_sub_f32_e32 v28, v41, v45
	v_sub_f32_e32 v8, v10, v8
	v_sub_f32_e32 v9, v11, v9
	v_fma_f32 v18, v36, 2.0, -v22
	v_fma_f32 v19, v37, 2.0, -v23
	;; [unrolled: 1-line block ×8, first 2 shown]
	v_sub_f32_e32 v5, v7, v5
	v_fma_f32 v10, v10, 2.0, -v8
	v_fma_f32 v11, v11, 2.0, -v9
	v_add_f32_e32 v12, v14, v12
	v_sub_f32_e32 v13, v15, v13
	v_sub_f32_e32 v16, v18, v16
	v_sub_f32_e32 v17, v19, v17
	v_add_f32_e32 v20, v22, v20
	v_sub_f32_e32 v21, v23, v21
	v_sub_f32_e32 v24, v26, v24
	v_sub_f32_e32 v25, v27, v25
	v_add_f32_e32 v28, v30, v28
	v_sub_f32_e32 v29, v31, v29
	v_fma_f32 v6, v6, 2.0, -v4
	v_fma_f32 v7, v7, 2.0, -v5
	;; [unrolled: 1-line block ×12, first 2 shown]
	ds_write2_b64 v50, v[2:3], v[10:11] offset1:119
	ds_write2_b64 v33, v[6:7], v[14:15] offset0:92 offset1:211
	ds_write2_b64 v61, v[0:1], v[8:9] offset0:56 offset1:175
	;; [unrolled: 1-line block ×7, first 2 shown]
	s_waitcnt lgkmcnt(0)
	s_barrier
	ds_read_b64 v[0:1], v50
	v_lshlrev_b32_e32 v2, 3, v32
	v_sub_u32_e32 v6, 0, v2
                                        ; implicit-def: $vgpr2
                                        ; implicit-def: $vgpr7
                                        ; implicit-def: $vgpr8
                                        ; implicit-def: $vgpr4_vgpr5
	s_and_saveexec_b64 s[2:3], vcc
	s_xor_b64 s[2:3], exec, s[2:3]
	s_cbranch_execz .LBB0_19
; %bb.18:
	v_mov_b32_e32 v33, 0
	v_lshlrev_b64 v[2:3], 3, v[32:33]
	v_mov_b32_e32 v4, s5
	v_add_co_u32_e32 v2, vcc, s4, v2
	v_addc_co_u32_e32 v3, vcc, v4, v3, vcc
	global_load_dwordx2 v[2:3], v[2:3], off
	ds_read_b64 v[4:5], v6 offset:15232
	s_waitcnt lgkmcnt(0)
	v_add_f32_e32 v9, v4, v0
	v_sub_f32_e32 v0, v0, v4
	v_add_f32_e32 v7, v5, v1
	v_sub_f32_e32 v1, v1, v5
	v_mul_f32_e32 v0, 0.5, v0
	v_mul_f32_e32 v4, 0.5, v7
	;; [unrolled: 1-line block ×3, first 2 shown]
	s_waitcnt vmcnt(0)
	v_mul_f32_e32 v5, v3, v0
	v_fma_f32 v8, v4, v3, v1
	v_fma_f32 v1, v4, v3, -v1
	v_fma_f32 v7, 0.5, v9, v5
	v_fma_f32 v5, v9, 0.5, -v5
	v_fma_f32 v8, -v2, v0, v8
	v_fma_f32 v3, -v2, v0, v1
	v_fmac_f32_e32 v7, v2, v4
	v_fma_f32 v2, -v2, v4, v5
	v_mov_b32_e32 v4, v32
	v_mov_b32_e32 v5, v33
                                        ; implicit-def: $vgpr0_vgpr1
.LBB0_19:
	s_andn2_saveexec_b64 s[2:3], s[2:3]
	s_cbranch_execz .LBB0_21
; %bb.20:
	v_mov_b32_e32 v8, 0
	ds_read_b32 v3, v8 offset:7620
	v_mov_b32_e32 v4, 0
	s_waitcnt lgkmcnt(1)
	v_add_f32_e32 v7, v0, v1
	v_sub_f32_e32 v2, v0, v1
	v_mov_b32_e32 v5, 0
	s_waitcnt lgkmcnt(0)
	v_xor_b32_e32 v0, 0x80000000, v3
	v_mov_b32_e32 v3, 0
	ds_write_b32 v8, v0 offset:7620
.LBB0_21:
	s_or_b64 exec, exec, s[2:3]
	s_waitcnt lgkmcnt(0)
	v_lshlrev_b64 v[0:1], 3, v[4:5]
	v_mov_b32_e32 v5, s5
	v_add_co_u32_e32 v4, vcc, s4, v0
	v_addc_co_u32_e32 v5, vcc, v5, v1, vcc
	global_load_dwordx2 v[9:10], v[4:5], off offset:952
	global_load_dwordx2 v[11:12], v[4:5], off offset:1904
	global_load_dwordx2 v[13:14], v[4:5], off offset:2856
	ds_write2_b32 v50, v7, v8 offset1:1
	ds_write_b64 v6, v[2:3] offset:15232
	ds_read_b64 v[7:8], v50 offset:952
	ds_read_b64 v[15:16], v6 offset:14280
	global_load_dwordx2 v[17:18], v[4:5], off offset:3808
	s_movk_i32 s2, 0x1000
	v_add_co_u32_e32 v4, vcc, s2, v4
	s_waitcnt lgkmcnt(0)
	v_add_f32_e32 v3, v7, v15
	v_sub_f32_e32 v7, v7, v15
	v_add_f32_e32 v19, v8, v16
	v_sub_f32_e32 v8, v8, v16
	v_mul_f32_e32 v7, 0.5, v7
	v_mul_f32_e32 v15, 0.5, v19
	;; [unrolled: 1-line block ×3, first 2 shown]
	v_addc_co_u32_e32 v5, vcc, 0, v5, vcc
	v_add_u32_e32 v2, 0x400, v50
	s_waitcnt vmcnt(3)
	v_mul_f32_e32 v16, v10, v7
	v_fma_f32 v19, v15, v10, v8
	v_fma_f32 v8, v15, v10, -v8
	v_fma_f32 v10, 0.5, v3, v16
	v_fma_f32 v19, -v9, v7, v19
	v_fma_f32 v3, v3, 0.5, -v16
	v_fmac_f32_e32 v10, v9, v15
	v_fma_f32 v8, -v9, v7, v8
	v_fma_f32 v7, -v9, v15, v3
	ds_write2_b32 v50, v10, v19 offset0:238 offset1:239
	ds_write_b64 v6, v[7:8] offset:14280
	ds_read_b64 v[7:8], v50 offset:1904
	ds_read_b64 v[9:10], v6 offset:13328
	global_load_dwordx2 v[15:16], v[4:5], off offset:664
	s_waitcnt lgkmcnt(0)
	v_add_f32_e32 v3, v7, v9
	v_sub_f32_e32 v7, v7, v9
	v_add_f32_e32 v19, v8, v10
	v_sub_f32_e32 v8, v8, v10
	v_mul_f32_e32 v7, 0.5, v7
	v_mul_f32_e32 v9, 0.5, v19
	;; [unrolled: 1-line block ×3, first 2 shown]
	s_waitcnt vmcnt(3)
	v_mul_f32_e32 v10, v12, v7
	v_fma_f32 v19, v9, v12, v8
	v_fma_f32 v8, v9, v12, -v8
	v_fma_f32 v12, 0.5, v3, v10
	v_fma_f32 v19, -v11, v7, v19
	v_fma_f32 v3, v3, 0.5, -v10
	v_fmac_f32_e32 v12, v11, v9
	v_fma_f32 v8, -v11, v7, v8
	v_fma_f32 v7, -v11, v9, v3
	ds_write2_b32 v2, v12, v19 offset0:220 offset1:221
	ds_write_b64 v6, v[7:8] offset:13328
	ds_read_b64 v[7:8], v50 offset:2856
	ds_read_b64 v[9:10], v6 offset:12376
	global_load_dwordx2 v[11:12], v[4:5], off offset:1616
	v_add_u32_e32 v3, 0x800, v50
	s_waitcnt lgkmcnt(0)
	v_add_f32_e32 v19, v7, v9
	v_sub_f32_e32 v7, v7, v9
	v_add_f32_e32 v20, v8, v10
	v_sub_f32_e32 v8, v8, v10
	v_mul_f32_e32 v7, 0.5, v7
	v_mul_f32_e32 v9, 0.5, v20
	;; [unrolled: 1-line block ×3, first 2 shown]
	s_waitcnt vmcnt(3)
	v_mul_f32_e32 v10, v14, v7
	v_fma_f32 v20, v9, v14, v8
	v_fma_f32 v8, v9, v14, -v8
	v_fma_f32 v14, 0.5, v19, v10
	v_fma_f32 v20, -v13, v7, v20
	v_fma_f32 v10, v19, 0.5, -v10
	v_fmac_f32_e32 v14, v13, v9
	v_fma_f32 v8, -v13, v7, v8
	v_fma_f32 v7, -v13, v9, v10
	ds_write2_b32 v3, v14, v20 offset0:202 offset1:203
	ds_write_b64 v6, v[7:8] offset:12376
	ds_read_b64 v[7:8], v50 offset:3808
	ds_read_b64 v[9:10], v6 offset:11424
	global_load_dwordx2 v[4:5], v[4:5], off offset:2568
	v_add_u32_e32 v3, 0xc00, v50
	s_waitcnt lgkmcnt(0)
	v_add_f32_e32 v13, v7, v9
	v_sub_f32_e32 v7, v7, v9
	v_add_f32_e32 v14, v8, v10
	v_sub_f32_e32 v8, v8, v10
	v_mul_f32_e32 v7, 0.5, v7
	v_mul_f32_e32 v9, 0.5, v14
	;; [unrolled: 1-line block ×3, first 2 shown]
	s_waitcnt vmcnt(3)
	v_mul_f32_e32 v10, v18, v7
	v_fma_f32 v14, v9, v18, v8
	v_fma_f32 v8, v9, v18, -v8
	v_fma_f32 v18, 0.5, v13, v10
	v_fma_f32 v14, -v17, v7, v14
	v_fma_f32 v10, v13, 0.5, -v10
	v_fmac_f32_e32 v18, v17, v9
	v_fma_f32 v8, -v17, v7, v8
	v_fma_f32 v7, -v17, v9, v10
	ds_write2_b32 v3, v18, v14 offset0:184 offset1:185
	ds_write_b64 v6, v[7:8] offset:11424
	ds_read_b64 v[7:8], v50 offset:4760
	ds_read_b64 v[9:10], v6 offset:10472
	v_add_u32_e32 v13, 0x1000, v50
	s_waitcnt lgkmcnt(0)
	v_add_f32_e32 v14, v7, v9
	v_sub_f32_e32 v7, v7, v9
	v_add_f32_e32 v17, v8, v10
	v_sub_f32_e32 v8, v8, v10
	v_mul_f32_e32 v7, 0.5, v7
	v_mul_f32_e32 v9, 0.5, v17
	;; [unrolled: 1-line block ×3, first 2 shown]
	s_waitcnt vmcnt(2)
	v_mul_f32_e32 v10, v16, v7
	v_fma_f32 v17, v9, v16, v8
	v_fma_f32 v8, v9, v16, -v8
	v_fma_f32 v16, 0.5, v14, v10
	v_fma_f32 v17, -v15, v7, v17
	v_fma_f32 v10, v14, 0.5, -v10
	v_fmac_f32_e32 v16, v15, v9
	v_fma_f32 v8, -v15, v7, v8
	v_fma_f32 v7, -v15, v9, v10
	ds_write2_b32 v13, v16, v17 offset0:166 offset1:167
	ds_write_b64 v6, v[7:8] offset:10472
	ds_read_b64 v[7:8], v50 offset:5712
	ds_read_b64 v[9:10], v6 offset:9520
	s_waitcnt lgkmcnt(0)
	v_add_f32_e32 v13, v7, v9
	v_sub_f32_e32 v7, v7, v9
	v_add_f32_e32 v14, v8, v10
	v_sub_f32_e32 v8, v8, v10
	v_mul_f32_e32 v7, 0.5, v7
	v_mul_f32_e32 v9, 0.5, v14
	;; [unrolled: 1-line block ×3, first 2 shown]
	s_waitcnt vmcnt(1)
	v_mul_f32_e32 v10, v12, v7
	v_fma_f32 v14, v9, v12, v8
	v_fma_f32 v12, v9, v12, -v8
	v_fma_f32 v15, 0.5, v13, v10
	v_fma_f32 v8, v13, 0.5, -v10
	v_fma_f32 v14, -v11, v7, v14
	v_fmac_f32_e32 v15, v11, v9
	v_fma_f32 v8, -v11, v9, v8
	v_fma_f32 v9, -v11, v7, v12
	v_add_u32_e32 v7, 0x1400, v50
	ds_write2_b32 v7, v15, v14 offset0:148 offset1:149
	ds_write_b64 v6, v[8:9] offset:9520
	ds_read_b64 v[8:9], v50 offset:6664
	ds_read_b64 v[10:11], v6 offset:8568
	s_waitcnt lgkmcnt(0)
	v_add_f32_e32 v12, v8, v10
	v_sub_f32_e32 v8, v8, v10
	v_add_f32_e32 v13, v9, v11
	v_sub_f32_e32 v9, v9, v11
	v_mul_f32_e32 v10, 0.5, v8
	v_mul_f32_e32 v13, 0.5, v13
	;; [unrolled: 1-line block ×3, first 2 shown]
	s_waitcnt vmcnt(0)
	v_mul_f32_e32 v8, v5, v10
	v_fma_f32 v11, 0.5, v12, v8
	v_fma_f32 v14, v13, v5, v9
	v_fma_f32 v8, v12, 0.5, -v8
	v_fma_f32 v5, v13, v5, -v9
	v_fmac_f32_e32 v11, v4, v13
	v_fma_f32 v14, -v4, v10, v14
	v_fma_f32 v8, -v4, v13, v8
	;; [unrolled: 1-line block ×3, first 2 shown]
	v_add_u32_e32 v4, 0x1800, v50
	ds_write2_b32 v4, v11, v14 offset0:130 offset1:131
	ds_write_b64 v6, v[8:9] offset:8568
	s_waitcnt lgkmcnt(0)
	s_barrier
	s_and_saveexec_b64 s[4:5], s[0:1]
	s_cbranch_execz .LBB0_24
; %bb.22:
	ds_read2_b64 v[8:11], v50 offset1:119
	v_mov_b32_e32 v4, s13
	v_add_co_u32_e32 v5, vcc, s12, v34
	v_addc_co_u32_e32 v4, vcc, v4, v35, vcc
	ds_read2_b64 v[12:15], v2 offset0:110 offset1:229
	v_add_co_u32_e32 v16, vcc, v5, v0
	v_addc_co_u32_e32 v17, vcc, v4, v1, vcc
	ds_read2_b64 v[0:3], v3 offset0:92 offset1:211
	s_waitcnt lgkmcnt(2)
	global_store_dwordx2 v[16:17], v[8:9], off
	global_store_dwordx2 v[16:17], v[10:11], off offset:952
	s_waitcnt lgkmcnt(1)
	global_store_dwordx2 v[16:17], v[12:13], off offset:1904
	global_store_dwordx2 v[16:17], v[14:15], off offset:2856
	s_waitcnt lgkmcnt(0)
	global_store_dwordx2 v[16:17], v[0:1], off offset:3808
	ds_read2_b64 v[6:9], v7 offset0:74 offset1:193
	v_add_u32_e32 v0, 0x1c00, v50
	ds_read2_b64 v[10:13], v0 offset0:56 offset1:175
	v_add_co_u32_e32 v0, vcc, s2, v16
	v_addc_co_u32_e32 v1, vcc, 0, v17, vcc
	global_store_dwordx2 v[0:1], v[2:3], off offset:664
	s_waitcnt lgkmcnt(1)
	global_store_dwordx2 v[0:1], v[6:7], off offset:1616
	global_store_dwordx2 v[0:1], v[8:9], off offset:2568
	s_waitcnt lgkmcnt(0)
	global_store_dwordx2 v[0:1], v[10:11], off offset:3520
	v_add_u32_e32 v0, 0x2400, v50
	ds_read2_b64 v[0:3], v0 offset0:38 offset1:157
	s_movk_i32 s0, 0x2000
	v_add_u32_e32 v6, 0x2c00, v50
	ds_read2_b64 v[6:9], v6 offset0:20 offset1:139
	v_add_co_u32_e32 v10, vcc, s0, v16
	v_addc_co_u32_e32 v11, vcc, 0, v17, vcc
	global_store_dwordx2 v[10:11], v[12:13], off offset:376
	s_waitcnt lgkmcnt(1)
	global_store_dwordx2 v[10:11], v[0:1], off offset:1328
	global_store_dwordx2 v[10:11], v[2:3], off offset:2280
	s_waitcnt lgkmcnt(0)
	global_store_dwordx2 v[10:11], v[6:7], off offset:3232
	v_add_u32_e32 v0, 0x3000, v50
	ds_read2_b64 v[0:3], v0 offset0:130 offset1:249
	v_add_co_u32_e32 v6, vcc, 0x3000, v16
	v_addc_co_u32_e32 v7, vcc, 0, v17, vcc
	s_movk_i32 s0, 0x76
	v_cmp_eq_u32_e32 vcc, s0, v32
	global_store_dwordx2 v[6:7], v[8:9], off offset:88
	s_waitcnt lgkmcnt(0)
	global_store_dwordx2 v[6:7], v[0:1], off offset:1040
	global_store_dwordx2 v[6:7], v[2:3], off offset:1992
	s_and_b64 exec, exec, vcc
	s_cbranch_execz .LBB0_24
; %bb.23:
	v_mov_b32_e32 v0, 0
	ds_read_b64 v[0:1], v0 offset:15232
	v_add_co_u32_e32 v2, vcc, 0x3000, v5
	v_addc_co_u32_e32 v3, vcc, 0, v4, vcc
	s_waitcnt lgkmcnt(0)
	global_store_dwordx2 v[2:3], v[0:1], off offset:2944
.LBB0_24:
	s_endpgm
	.section	.rodata,"a",@progbits
	.p2align	6, 0x0
	.amdhsa_kernel fft_rtc_back_len1904_factors_17_2_2_7_4_wgs_119_tpt_119_halfLds_sp_ip_CI_unitstride_sbrr_R2C_dirReg
		.amdhsa_group_segment_fixed_size 0
		.amdhsa_private_segment_fixed_size 0
		.amdhsa_kernarg_size 88
		.amdhsa_user_sgpr_count 6
		.amdhsa_user_sgpr_private_segment_buffer 1
		.amdhsa_user_sgpr_dispatch_ptr 0
		.amdhsa_user_sgpr_queue_ptr 0
		.amdhsa_user_sgpr_kernarg_segment_ptr 1
		.amdhsa_user_sgpr_dispatch_id 0
		.amdhsa_user_sgpr_flat_scratch_init 0
		.amdhsa_user_sgpr_private_segment_size 0
		.amdhsa_uses_dynamic_stack 0
		.amdhsa_system_sgpr_private_segment_wavefront_offset 0
		.amdhsa_system_sgpr_workgroup_id_x 1
		.amdhsa_system_sgpr_workgroup_id_y 0
		.amdhsa_system_sgpr_workgroup_id_z 0
		.amdhsa_system_sgpr_workgroup_info 0
		.amdhsa_system_vgpr_workitem_id 0
		.amdhsa_next_free_vgpr 214
		.amdhsa_next_free_sgpr 22
		.amdhsa_reserve_vcc 1
		.amdhsa_reserve_flat_scratch 0
		.amdhsa_float_round_mode_32 0
		.amdhsa_float_round_mode_16_64 0
		.amdhsa_float_denorm_mode_32 3
		.amdhsa_float_denorm_mode_16_64 3
		.amdhsa_dx10_clamp 1
		.amdhsa_ieee_mode 1
		.amdhsa_fp16_overflow 0
		.amdhsa_exception_fp_ieee_invalid_op 0
		.amdhsa_exception_fp_denorm_src 0
		.amdhsa_exception_fp_ieee_div_zero 0
		.amdhsa_exception_fp_ieee_overflow 0
		.amdhsa_exception_fp_ieee_underflow 0
		.amdhsa_exception_fp_ieee_inexact 0
		.amdhsa_exception_int_div_zero 0
	.end_amdhsa_kernel
	.text
.Lfunc_end0:
	.size	fft_rtc_back_len1904_factors_17_2_2_7_4_wgs_119_tpt_119_halfLds_sp_ip_CI_unitstride_sbrr_R2C_dirReg, .Lfunc_end0-fft_rtc_back_len1904_factors_17_2_2_7_4_wgs_119_tpt_119_halfLds_sp_ip_CI_unitstride_sbrr_R2C_dirReg
                                        ; -- End function
	.section	.AMDGPU.csdata,"",@progbits
; Kernel info:
; codeLenInByte = 13296
; NumSgprs: 26
; NumVgprs: 214
; ScratchSize: 0
; MemoryBound: 0
; FloatMode: 240
; IeeeMode: 1
; LDSByteSize: 0 bytes/workgroup (compile time only)
; SGPRBlocks: 3
; VGPRBlocks: 53
; NumSGPRsForWavesPerEU: 26
; NumVGPRsForWavesPerEU: 214
; Occupancy: 1
; WaveLimiterHint : 1
; COMPUTE_PGM_RSRC2:SCRATCH_EN: 0
; COMPUTE_PGM_RSRC2:USER_SGPR: 6
; COMPUTE_PGM_RSRC2:TRAP_HANDLER: 0
; COMPUTE_PGM_RSRC2:TGID_X_EN: 1
; COMPUTE_PGM_RSRC2:TGID_Y_EN: 0
; COMPUTE_PGM_RSRC2:TGID_Z_EN: 0
; COMPUTE_PGM_RSRC2:TIDIG_COMP_CNT: 0
	.type	__hip_cuid_4820d29090b31109,@object ; @__hip_cuid_4820d29090b31109
	.section	.bss,"aw",@nobits
	.globl	__hip_cuid_4820d29090b31109
__hip_cuid_4820d29090b31109:
	.byte	0                               ; 0x0
	.size	__hip_cuid_4820d29090b31109, 1

	.ident	"AMD clang version 19.0.0git (https://github.com/RadeonOpenCompute/llvm-project roc-6.4.0 25133 c7fe45cf4b819c5991fe208aaa96edf142730f1d)"
	.section	".note.GNU-stack","",@progbits
	.addrsig
	.addrsig_sym __hip_cuid_4820d29090b31109
	.amdgpu_metadata
---
amdhsa.kernels:
  - .args:
      - .actual_access:  read_only
        .address_space:  global
        .offset:         0
        .size:           8
        .value_kind:     global_buffer
      - .offset:         8
        .size:           8
        .value_kind:     by_value
      - .actual_access:  read_only
        .address_space:  global
        .offset:         16
        .size:           8
        .value_kind:     global_buffer
      - .actual_access:  read_only
        .address_space:  global
        .offset:         24
        .size:           8
        .value_kind:     global_buffer
      - .offset:         32
        .size:           8
        .value_kind:     by_value
      - .actual_access:  read_only
        .address_space:  global
        .offset:         40
        .size:           8
        .value_kind:     global_buffer
      - .actual_access:  read_only
        .address_space:  global
        .offset:         48
        .size:           8
        .value_kind:     global_buffer
      - .offset:         56
        .size:           4
        .value_kind:     by_value
      - .actual_access:  read_only
        .address_space:  global
        .offset:         64
        .size:           8
        .value_kind:     global_buffer
      - .actual_access:  read_only
        .address_space:  global
        .offset:         72
        .size:           8
        .value_kind:     global_buffer
      - .address_space:  global
        .offset:         80
        .size:           8
        .value_kind:     global_buffer
    .group_segment_fixed_size: 0
    .kernarg_segment_align: 8
    .kernarg_segment_size: 88
    .language:       OpenCL C
    .language_version:
      - 2
      - 0
    .max_flat_workgroup_size: 119
    .name:           fft_rtc_back_len1904_factors_17_2_2_7_4_wgs_119_tpt_119_halfLds_sp_ip_CI_unitstride_sbrr_R2C_dirReg
    .private_segment_fixed_size: 0
    .sgpr_count:     26
    .sgpr_spill_count: 0
    .symbol:         fft_rtc_back_len1904_factors_17_2_2_7_4_wgs_119_tpt_119_halfLds_sp_ip_CI_unitstride_sbrr_R2C_dirReg.kd
    .uniform_work_group_size: 1
    .uses_dynamic_stack: false
    .vgpr_count:     214
    .vgpr_spill_count: 0
    .wavefront_size: 64
amdhsa.target:   amdgcn-amd-amdhsa--gfx906
amdhsa.version:
  - 1
  - 2
...

	.end_amdgpu_metadata
